;; amdgpu-corpus repo=ROCm/rocFFT kind=compiled arch=gfx950 opt=O3
	.text
	.amdgcn_target "amdgcn-amd-amdhsa--gfx950"
	.amdhsa_code_object_version 6
	.protected	bluestein_single_back_len255_dim1_sp_op_CI_CI ; -- Begin function bluestein_single_back_len255_dim1_sp_op_CI_CI
	.globl	bluestein_single_back_len255_dim1_sp_op_CI_CI
	.p2align	8
	.type	bluestein_single_back_len255_dim1_sp_op_CI_CI,@function
bluestein_single_back_len255_dim1_sp_op_CI_CI: ; @bluestein_single_back_len255_dim1_sp_op_CI_CI
; %bb.0:
	s_load_dwordx4 s[8:11], s[0:1], 0x28
	v_mul_u32_u24_e32 v1, 0xf10, v0
	v_lshrrev_b32_e32 v2, 16, v1
	v_mad_u64_u32 v[218:219], s[2:3], s2, 3, v[2:3]
	v_mov_b32_e32 v215, 0
	v_mov_b32_e32 v219, v215
	s_waitcnt lgkmcnt(0)
	v_cmp_gt_u64_e32 vcc, s[8:9], v[218:219]
	s_and_saveexec_b64 s[2:3], vcc
	s_cbranch_execz .LBB0_15
; %bb.1:
	v_mul_lo_u16_e32 v1, 17, v2
	s_mov_b32 s4, 0xaaaaaaab
	v_sub_u16_e32 v214, v0, v1
	v_mul_hi_u32 v0, v218, s4
	s_load_dwordx2 s[2:3], s[0:1], 0x0
	s_load_dwordx2 s[8:9], s[0:1], 0x38
	v_lshrrev_b32_e32 v0, 1, v0
	v_lshl_add_u32 v0, v0, 1, v0
	v_sub_u32_e32 v0, v218, v0
	v_mul_u32_u24_e32 v216, 0xff, v0
	v_cmp_gt_u16_e32 vcc, 15, v214
	v_lshlrev_b32_e32 v160, 3, v214
	v_lshlrev_b32_e32 v146, 3, v216
	s_and_saveexec_b64 s[12:13], vcc
	s_cbranch_execz .LBB0_3
; %bb.2:
	s_load_dwordx2 s[4:5], s[0:1], 0x18
	v_mov_b32_e32 v0, s10
	v_mov_b32_e32 v1, s11
	;; [unrolled: 1-line block ×3, first 2 shown]
	v_or_b32_e32 v37, 0xf0, v214
	s_waitcnt lgkmcnt(0)
	s_load_dwordx4 s[4:7], s[4:5], 0x0
	s_waitcnt lgkmcnt(0)
	v_mad_u64_u32 v[2:3], s[10:11], s6, v218, 0
	v_mad_u64_u32 v[4:5], s[10:11], s4, v214, 0
	v_mov_b32_e32 v6, v3
	v_mov_b32_e32 v8, v5
	v_mad_u64_u32 v[6:7], s[6:7], s7, v218, v[6:7]
	v_mov_b32_e32 v3, v6
	v_mad_u64_u32 v[6:7], s[6:7], s5, v214, v[8:9]
	v_mov_b32_e32 v5, v6
	v_lshl_add_u64 v[2:3], v[2:3], 3, v[0:1]
	v_lshl_add_u64 v[4:5], v[4:5], 3, v[2:3]
	v_mad_u64_u32 v[6:7], s[6:7], s4, v68, v[4:5]
	s_mul_i32 s6, s5, 0x78
	s_nop 0
	v_add_u32_e32 v7, s6, v7
	v_mad_u64_u32 v[14:15], s[10:11], s4, v68, v[6:7]
	v_add_u32_e32 v15, s6, v15
	global_load_dwordx2 v[0:1], v[4:5], off
	v_mad_u64_u32 v[34:35], s[10:11], s4, v37, 0
	global_load_dwordx2 v[4:5], v[6:7], off
	global_load_dwordx2 v[10:11], v160, s[2:3]
	s_nop 0
	global_load_dwordx2 v[6:7], v160, s[2:3] offset:120
	global_load_dwordx2 v[8:9], v160, s[2:3] offset:240
	;; [unrolled: 1-line block ×11, first 2 shown]
	global_load_dwordx2 v[32:33], v[14:15], off
	v_mad_u64_u32 v[14:15], s[10:11], s4, v68, v[14:15]
	v_add_u32_e32 v15, s6, v15
	global_load_dwordx2 v[38:39], v[14:15], off
	v_mad_u64_u32 v[14:15], s[10:11], s4, v68, v[14:15]
	v_add_u32_e32 v15, s6, v15
	global_load_dwordx2 v[40:41], v[14:15], off
	v_mad_u64_u32 v[14:15], s[10:11], s4, v68, v[14:15]
	v_add_u32_e32 v15, s6, v15
	global_load_dwordx2 v[42:43], v[14:15], off
	v_mad_u64_u32 v[14:15], s[10:11], s4, v68, v[14:15]
	v_add_u32_e32 v15, s6, v15
	global_load_dwordx2 v[44:45], v[14:15], off
	v_mad_u64_u32 v[14:15], s[10:11], s4, v68, v[14:15]
	v_add_u32_e32 v15, s6, v15
	global_load_dwordx2 v[46:47], v[14:15], off
	v_mad_u64_u32 v[14:15], s[10:11], s4, v68, v[14:15]
	v_add_u32_e32 v15, s6, v15
	global_load_dwordx2 v[48:49], v[14:15], off
	v_mad_u64_u32 v[14:15], s[10:11], s4, v68, v[14:15]
	v_add_u32_e32 v15, s6, v15
	global_load_dwordx2 v[50:51], v[14:15], off
	v_mad_u64_u32 v[14:15], s[10:11], s4, v68, v[14:15]
	v_add_u32_e32 v15, s6, v15
	global_load_dwordx2 v[52:53], v[14:15], off
	v_mad_u64_u32 v[14:15], s[10:11], s4, v68, v[14:15]
	v_add_u32_e32 v15, s6, v15
	global_load_dwordx2 v[54:55], v[14:15], off
	v_mad_u64_u32 v[14:15], s[10:11], s4, v68, v[14:15]
	v_add_u32_e32 v15, s6, v15
	global_load_dwordx2 v[56:57], v[14:15], off
	global_load_dwordx2 v[58:59], v160, s[2:3] offset:1440
	v_mad_u64_u32 v[14:15], s[10:11], s4, v68, v[14:15]
	v_add_u32_e32 v15, s6, v15
	v_mov_b32_e32 v36, v35
	global_load_dwordx2 v[60:61], v[14:15], off
	global_load_dwordx2 v[62:63], v160, s[2:3] offset:1560
	v_mad_u64_u32 v[14:15], s[10:11], s4, v68, v[14:15]
	v_mad_u64_u32 v[36:37], s[10:11], s5, v37, v[36:37]
	v_add_u32_e32 v15, s6, v15
	global_load_dwordx2 v[64:65], v[14:15], off
	global_load_dwordx2 v[66:67], v160, s[2:3] offset:1680
	v_mad_u64_u32 v[14:15], s[4:5], s4, v68, v[14:15]
	v_mov_b32_e32 v35, v36
	v_add_u32_e32 v15, s6, v15
	v_lshl_add_u64 v[2:3], v[34:35], 3, v[2:3]
	global_load_dwordx2 v[68:69], v[14:15], off
	global_load_dwordx2 v[72:73], v160, s[2:3] offset:1800
	s_nop 0
	global_load_dwordx2 v[14:15], v[2:3], off
	global_load_dwordx2 v[34:35], v160, s[2:3] offset:1920
	v_lshl_add_u32 v36, v214, 3, v146
	s_waitcnt vmcnt(31)
	v_mul_f32_e32 v2, v1, v11
	v_mul_f32_e32 v3, v0, v11
	v_fmac_f32_e32 v2, v0, v10
	v_fma_f32 v3, v1, v10, -v3
	ds_write_b64 v36, v[2:3]
	s_waitcnt vmcnt(19)
	v_mul_f32_e32 v2, v32, v9
	v_mul_f32_e32 v0, v5, v7
	;; [unrolled: 1-line block ×3, first 2 shown]
	v_fma_f32 v3, v33, v8, -v2
	v_mul_f32_e32 v2, v33, v9
	v_fmac_f32_e32 v0, v4, v6
	v_fma_f32 v1, v5, v6, -v1
	v_fmac_f32_e32 v2, v32, v8
	v_add_u32_e32 v4, v146, v160
	ds_write2_b64 v4, v[0:1], v[2:3] offset0:15 offset1:30
	s_waitcnt vmcnt(18)
	v_mul_f32_e32 v0, v39, v13
	v_mul_f32_e32 v1, v38, v13
	s_waitcnt vmcnt(17)
	v_mul_f32_e32 v2, v41, v17
	v_mul_f32_e32 v3, v40, v17
	v_fmac_f32_e32 v0, v38, v12
	v_fma_f32 v1, v39, v12, -v1
	v_fmac_f32_e32 v2, v40, v16
	v_fma_f32 v3, v41, v16, -v3
	ds_write2_b64 v4, v[0:1], v[2:3] offset0:45 offset1:60
	s_waitcnt vmcnt(16)
	v_mul_f32_e32 v0, v43, v19
	v_mul_f32_e32 v1, v42, v19
	s_waitcnt vmcnt(15)
	v_mul_f32_e32 v2, v45, v21
	v_mul_f32_e32 v3, v44, v21
	v_fmac_f32_e32 v0, v42, v18
	v_fma_f32 v1, v43, v18, -v1
	v_fmac_f32_e32 v2, v44, v20
	v_fma_f32 v3, v45, v20, -v3
	;; [unrolled: 11-line block ×7, first 2 shown]
	ds_write2_b64 v4, v[0:1], v[2:3] offset0:225 offset1:240
.LBB0_3:
	s_or_b64 exec, exec, s[12:13]
	s_load_dwordx2 s[4:5], s[0:1], 0x20
	s_load_dwordx2 s[10:11], s[0:1], 0x8
	v_mov_b32_e32 v0, 0
	v_mov_b32_e32 v1, 0
	s_waitcnt lgkmcnt(0)
	; wave barrier
	s_waitcnt lgkmcnt(0)
                                        ; implicit-def: $vgpr6
                                        ; implicit-def: $vgpr12
                                        ; implicit-def: $vgpr10
                                        ; implicit-def: $vgpr24
                                        ; implicit-def: $vgpr22
                                        ; implicit-def: $vgpr56
                                        ; implicit-def: $vgpr30
                                        ; implicit-def: $vgpr34
	s_and_saveexec_b64 s[0:1], vcc
	s_cbranch_execz .LBB0_5
; %bb.4:
	v_lshlrev_b32_e32 v0, 3, v214
	v_lshl_add_u32 v16, v216, 3, v0
	ds_read2_b64 v[0:3], v16 offset1:15
	ds_read2_b64 v[32:35], v16 offset0:30 offset1:45
	ds_read2_b64 v[20:23], v16 offset0:60 offset1:75
	;; [unrolled: 1-line block ×7, first 2 shown]
	ds_read_b64 v[56:57], v16 offset:1920
.LBB0_5:
	s_or_b64 exec, exec, s[0:1]
	s_mov_b32 s22, 0xbeb8f4ab
	s_waitcnt lgkmcnt(0)
	v_pk_add_f32 v[38:39], v[56:57], v[2:3]
	v_pk_add_f32 v[18:19], v[2:3], v[56:57] neg_lo:[0,1] neg_hi:[0,1]
	s_mov_b32 s23, 0x3f6eb680
	s_mov_b32 s38, 0xbf2c7751
	v_mov_b32_e32 v17, v39
	v_mov_b32_e32 v39, v18
	s_mov_b32 s0, s23
	s_mov_b32 s1, s22
	;; [unrolled: 1-line block ×3, first 2 shown]
	v_pk_mul_f32 v[60:61], v[38:39], s[0:1]
	s_mov_b32 s0, s39
	s_mov_b32 s1, s38
	v_pk_mul_f32 v[68:69], v[38:39], s[0:1]
	s_mov_b32 s0, 0xbf7ee86f
	v_pk_add_f32 v[42:43], v[30:31], v[32:33]
	v_pk_add_f32 v[64:65], v[32:33], v[30:31] neg_lo:[0,1] neg_hi:[0,1]
	s_mov_b32 s1, 0x3dbcf732
	v_mov_b32_e32 v16, v19
	v_mov_b32_e32 v40, v42
	;; [unrolled: 1-line block ×3, first 2 shown]
	s_mov_b32 s46, s1
	s_mov_b32 s47, s0
	v_pk_fma_f32 v[62:63], v[16:17], s[38:39], v[68:69]
	v_pk_fma_f32 v[44:45], v[16:17], s[38:39], v[68:69] neg_lo:[0,0,1] neg_hi:[0,0,1]
	v_mov_b32_e32 v36, v65
	v_mov_b32_e32 v37, v43
	v_pk_mul_f32 v[88:89], v[40:41], s[46:47]
	v_pk_fma_f32 v[58:59], v[16:17], s[22:23], v[60:61]
	v_pk_fma_f32 v[18:19], v[16:17], s[22:23], v[60:61] neg_lo:[0,0,1] neg_hi:[0,0,1]
	v_pk_fma_f32 v[86:87], v[36:37], s[0:1], v[88:89]
	v_pk_fma_f32 v[46:47], v[36:37], s[0:1], v[88:89] neg_lo:[0,0,1] neg_hi:[0,0,1]
	s_mov_b32 s6, s39
	v_pk_mul_f32 v[48:49], v[64:65], s[38:39] op_sel:[1,0] op_sel_hi:[0,0]
	v_mov_b32_e32 v44, v62
	v_mov_b32_e32 v18, v58
	v_pk_fma_f32 v[94:95], v[42:43], s[6:7], v[48:49] op_sel_hi:[1,0,1]
	v_pk_fma_f32 v[96:97], v[42:43], s[6:7], v[48:49] op_sel_hi:[1,0,1] neg_lo:[0,0,1] neg_hi:[0,0,1]
	v_pk_add_f32 v[44:45], v[44:45], v[0:1]
	v_mov_b32_e32 v46, v86
	v_pk_add_f32 v[18:19], v[18:19], v[0:1]
	v_mov_b32_e32 v42, v94
	v_mov_b32_e32 v43, v97
	v_pk_add_f32 v[46:47], v[46:47], v[44:45]
	v_pk_add_f32 v[44:45], v[34:35], v[28:29] neg_lo:[0,1] neg_hi:[0,1]
	s_mov_b32 s6, 0xbf65296c
	v_pk_add_f32 v[18:19], v[42:43], v[18:19]
	v_pk_add_f32 v[42:43], v[28:29], v[34:35]
	s_mov_b32 s26, 0x3ee437d1
	v_pk_mul_f32 v[48:49], v[44:45], s[6:7] op_sel_hi:[1,0]
	s_mov_b32 s12, 0xbf4c4adb
	v_pk_fma_f32 v[98:99], v[42:43], s[26:27], v[48:49] op_sel:[0,0,1] op_sel_hi:[1,0,0]
	v_pk_fma_f32 v[104:105], v[42:43], s[26:27], v[48:49] op_sel:[0,0,1] op_sel_hi:[1,0,0] neg_lo:[0,0,1] neg_hi:[0,0,1]
	v_mov_b32_e32 v48, v98
	v_mov_b32_e32 v49, v105
	v_pk_add_f32 v[18:19], v[48:49], v[18:19]
	s_mov_b32 s28, 0xbf1a4643
	v_pk_mul_f32 v[48:49], v[44:45], s[12:13] op_sel_hi:[1,0]
	v_pk_add_f32 v[66:67], v[20:21], v[26:27] neg_lo:[0,1] neg_hi:[0,1]
	v_pk_fma_f32 v[90:91], v[42:43], s[28:29], v[48:49] op_sel:[0,0,1] op_sel_hi:[1,0,0]
	v_pk_fma_f32 v[92:93], v[42:43], s[28:29], v[48:49] op_sel:[0,0,1] op_sel_hi:[1,0,0] neg_lo:[0,0,1] neg_hi:[0,0,1]
	v_mov_b32_e32 v48, v90
	v_mov_b32_e32 v49, v93
	v_pk_add_f32 v[48:49], v[48:49], v[46:47]
	s_mov_b32 s14, s1
	v_pk_add_f32 v[46:47], v[26:27], v[20:21]
	v_pk_mul_f32 v[50:51], v[66:67], s[0:1] op_sel:[1,0] op_sel_hi:[0,0]
	v_pk_fma_f32 v[106:107], v[46:47], s[14:15], v[50:51] op_sel_hi:[1,0,1]
	v_pk_fma_f32 v[108:109], v[46:47], s[14:15], v[50:51] op_sel_hi:[1,0,1] neg_lo:[0,0,1] neg_hi:[0,0,1]
	v_mov_b32_e32 v50, v106
	v_mov_b32_e32 v51, v109
	s_mov_b32 s14, 0xbe3c28d5
	v_pk_add_f32 v[18:19], v[50:51], v[18:19]
	s_mov_b32 s40, 0xbf7ba420
	v_pk_mul_f32 v[50:51], v[66:67], s[14:15] op_sel:[1,0] op_sel_hi:[0,0]
	v_pk_fma_f32 v[100:101], v[46:47], s[40:41], v[50:51] op_sel_hi:[1,0,1]
	v_pk_fma_f32 v[102:103], v[46:47], s[40:41], v[50:51] op_sel_hi:[1,0,1] neg_lo:[0,0,1] neg_hi:[0,0,1]
	v_mov_b32_e32 v50, v100
	v_mov_b32_e32 v51, v103
	s_mov_b32 s18, 0xbf763a35
	v_pk_add_f32 v[74:75], v[22:23], v[24:25] neg_lo:[0,1] neg_hi:[0,1]
	v_pk_add_f32 v[50:51], v[50:51], v[48:49]
	s_mov_b32 s36, 0xbe8c1d8e
	v_pk_add_f32 v[48:49], v[24:25], v[22:23]
	v_pk_mul_f32 v[52:53], v[74:75], s[18:19] op_sel:[1,0] op_sel_hi:[0,0]
	v_pk_fma_f32 v[118:119], v[48:49], s[36:37], v[52:53] op_sel_hi:[1,0,1]
	v_pk_fma_f32 v[120:121], v[48:49], s[36:37], v[52:53] op_sel_hi:[1,0,1] neg_lo:[0,0,1] neg_hi:[0,0,1]
	v_mov_b32_e32 v52, v118
	v_mov_b32_e32 v53, v121
	s_mov_b32 s20, 0x3f06c442
	v_pk_add_f32 v[18:19], v[52:53], v[18:19]
	s_mov_b32 s42, 0xbf59a7d5
	v_pk_mul_f32 v[52:53], v[74:75], s[20:21] op_sel:[1,0] op_sel_hi:[0,0]
	v_pk_fma_f32 v[110:111], v[48:49], s[42:43], v[52:53] op_sel_hi:[1,0,1]
	v_pk_fma_f32 v[112:113], v[48:49], s[42:43], v[52:53] op_sel_hi:[1,0,1] neg_lo:[0,0,1] neg_hi:[0,0,1]
	v_mov_b32_e32 v52, v110
	v_mov_b32_e32 v53, v113
	v_pk_add_f32 v[76:77], v[8:9], v[14:15] neg_lo:[0,1] neg_hi:[0,1]
	v_pk_add_f32 v[52:53], v[52:53], v[50:51]
	v_pk_add_f32 v[50:51], v[14:15], v[8:9]
	v_pk_mul_f32 v[54:55], v[76:77], s[12:13] op_sel:[1,0] op_sel_hi:[0,0]
	v_pk_fma_f32 v[126:127], v[50:51], s[28:29], v[54:55] op_sel_hi:[1,0,1]
	v_pk_fma_f32 v[128:129], v[50:51], s[28:29], v[54:55] op_sel_hi:[1,0,1] neg_lo:[0,0,1] neg_hi:[0,0,1]
	v_mov_b32_e32 v54, v126
	v_mov_b32_e32 v55, v129
	s_mov_b32 s24, 0x3f763a35
	v_pk_add_f32 v[18:19], v[54:55], v[18:19]
	v_pk_mul_f32 v[54:55], v[76:77], s[24:25] op_sel:[1,0] op_sel_hi:[0,0]
	v_pk_fma_f32 v[114:115], v[50:51], s[36:37], v[54:55] op_sel_hi:[1,0,1]
	v_pk_fma_f32 v[116:117], v[50:51], s[36:37], v[54:55] op_sel_hi:[1,0,1] neg_lo:[0,0,1] neg_hi:[0,0,1]
	v_mov_b32_e32 v54, v114
	v_mov_b32_e32 v55, v117
	s_mov_b32 s30, 0xbf06c442
	v_pk_add_f32 v[142:143], v[10:11], v[12:13] neg_lo:[0,1] neg_hi:[0,1]
	v_pk_add_f32 v[54:55], v[54:55], v[52:53]
	v_pk_add_f32 v[52:53], v[12:13], v[10:11]
	v_pk_mul_f32 v[72:73], v[142:143], s[30:31] op_sel:[1,0] op_sel_hi:[0,0]
	v_pk_fma_f32 v[134:135], v[52:53], s[42:43], v[72:73] op_sel_hi:[1,0,1]
	v_pk_fma_f32 v[136:137], v[52:53], s[42:43], v[72:73] op_sel_hi:[1,0,1] neg_lo:[0,0,1] neg_hi:[0,0,1]
	v_mov_b32_e32 v72, v134
	v_mov_b32_e32 v73, v137
	s_mov_b32 s34, 0x3f65296c
	v_pk_add_f32 v[18:19], v[72:73], v[18:19]
	v_pk_mul_f32 v[72:73], v[142:143], s[34:35] op_sel:[1,0] op_sel_hi:[0,0]
	v_pk_fma_f32 v[122:123], v[52:53], s[26:27], v[72:73] op_sel_hi:[1,0,1]
	v_pk_fma_f32 v[124:125], v[52:53], s[26:27], v[72:73] op_sel_hi:[1,0,1] neg_lo:[0,0,1] neg_hi:[0,0,1]
	v_mov_b32_e32 v72, v122
	v_mov_b32_e32 v73, v125
	v_pk_add_f32 v[144:145], v[4:5], v[6:7] neg_lo:[0,1] neg_hi:[0,1]
	v_pk_add_f32 v[78:79], v[72:73], v[54:55]
	v_pk_add_f32 v[54:55], v[6:7], v[4:5]
	v_pk_mul_f32 v[72:73], v[144:145], s[14:15] op_sel:[1,0] op_sel_hi:[0,0]
	v_pk_fma_f32 v[138:139], v[54:55], s[40:41], v[72:73] op_sel_hi:[1,0,1]
	v_pk_fma_f32 v[140:141], v[54:55], s[40:41], v[72:73] op_sel_hi:[1,0,1] neg_lo:[0,0,1] neg_hi:[0,0,1]
	v_mov_b32_e32 v72, v138
	v_mov_b32_e32 v73, v141
	s_mov_b32 s44, 0x3eb8f4ab
	v_pk_add_f32 v[72:73], v[72:73], v[18:19]
	s_mov_b32 s16, s23
	v_pk_mul_f32 v[18:19], v[144:145], s[44:45] op_sel:[1,0] op_sel_hi:[0,0]
	v_pk_fma_f32 v[130:131], v[54:55], s[16:17], v[18:19] op_sel_hi:[1,0,1]
	v_pk_fma_f32 v[132:133], v[54:55], s[16:17], v[18:19] op_sel_hi:[1,0,1] neg_lo:[0,0,1] neg_hi:[0,0,1]
	v_mov_b32_e32 v18, v130
	v_mov_b32_e32 v19, v133
	v_pk_add_f32 v[18:19], v[18:19], v[78:79]
	s_waitcnt lgkmcnt(0)
	; wave barrier
	s_and_saveexec_b64 s[16:17], vcc
	s_cbranch_execz .LBB0_7
; %bb.6:
	v_pk_add_f32 v[2:3], v[2:3], v[0:1]
	v_mov_b32_e32 v97, v95
	v_pk_add_f32 v[2:3], v[32:33], v[2:3]
	v_mov_b32_e32 v93, v91
	;; [unrolled: 2-line block ×5, first 2 shown]
	v_pk_add_f32 v[2:3], v[8:9], v[2:3]
	v_pk_mul_f32 v[8:9], v[36:37], s[0:1]
	v_pk_add_f32 v[2:3], v[10:11], v[2:3]
	v_mov_b32_e32 v113, v111
	v_pk_add_f32 v[2:3], v[4:5], v[2:3]
	v_pk_mul_f32 v[4:5], v[16:17], s[22:23]
	v_pk_add_f32 v[2:3], v[6:7], v[2:3]
	v_pk_mul_f32 v[6:7], v[16:17], s[38:39]
	v_pk_add_f32 v[2:3], v[12:13], v[2:3]
	v_pk_add_f32 v[12:13], v[68:69], v[6:7] neg_lo:[0,1] neg_hi:[0,1]
	v_pk_add_f32 v[2:3], v[14:15], v[2:3]
	v_mov_b32_e32 v13, v63
	v_pk_add_f32 v[14:15], v[88:89], v[8:9] neg_lo:[0,1] neg_hi:[0,1]
	v_pk_add_f32 v[20:21], v[60:61], v[4:5] neg_lo:[0,1] neg_hi:[0,1]
	v_mov_b32_e32 v15, v87
	v_mov_b32_e32 v21, v59
	v_pk_add_f32 v[12:13], v[12:13], v[0:1]
	v_pk_add_f32 v[20:21], v[20:21], v[0:1]
	v_pk_add_f32 v[12:13], v[14:15], v[12:13]
	v_pk_add_f32 v[20:21], v[96:97], v[20:21]
	v_pk_add_f32 v[12:13], v[92:93], v[12:13]
	v_pk_add_f32 v[20:21], v[104:105], v[20:21]
	v_pk_add_f32 v[12:13], v[102:103], v[12:13]
	v_pk_add_f32 v[2:3], v[24:25], v[2:3]
	s_mov_b32 s27, s34
	v_pk_add_f32 v[20:21], v[108:109], v[20:21]
	v_mov_b32_e32 v121, v119
	v_pk_add_f32 v[12:13], v[112:113], v[12:13]
	v_mov_b32_e32 v117, v115
	;; [unrolled: 2-line block ×3, first 2 shown]
	v_mov_b32_e32 v83, v74
	v_pk_mul_f32 v[74:75], v[40:41], s[26:27]
	s_mov_b32 s27, s6
	v_pk_add_f32 v[20:21], v[120:121], v[20:21]
	v_mov_b32_e32 v129, v127
	v_pk_add_f32 v[12:13], v[116:117], v[12:13]
	v_mov_b32_e32 v125, v123
	v_pk_add_f32 v[2:3], v[28:29], v[2:3]
	v_pk_mul_f32 v[4:5], v[38:39], s[26:27]
	s_mov_b32 s7, s26
	v_pk_add_f32 v[20:21], v[128:129], v[20:21]
	v_mov_b32_e32 v137, v135
	v_pk_add_f32 v[12:13], v[124:125], v[12:13]
	v_mov_b32_e32 v133, v131
	v_pk_add_f32 v[2:3], v[30:31], v[2:3]
	s_mov_b32 s29, s12
	v_mul_lo_u16_e32 v24, 17, v214
	v_pk_add_f32 v[20:21], v[136:137], v[20:21]
	v_mov_b32_e32 v141, v139
	v_pk_add_f32 v[86:87], v[132:133], v[12:13]
	v_pk_fma_f32 v[14:15], v[16:17], s[6:7], v[4:5] neg_lo:[1,0,0] neg_hi:[1,0,0]
	v_pk_fma_f32 v[12:13], v[16:17], s[6:7], v[4:5]
	v_mov_b32_e32 v106, v65
	s_mov_b32 s13, s28
	v_pk_add_f32 v[22:23], v[56:57], v[2:3]
	v_pk_mul_f32 v[2:3], v[40:41], s[28:29]
	v_add_lshl_u32 v68, v216, v24, 3
	v_pk_add_f32 v[20:21], v[140:141], v[20:21]
	v_mov_b32_e32 v15, v13
	ds_write2_b64 v68, v[22:23], v[20:21] offset1:1
	v_pk_add_f32 v[20:21], v[14:15], v[0:1]
	v_pk_fma_f32 v[22:23], v[106:107], s[12:13], v[2:3] neg_lo:[1,0,0] neg_hi:[1,0,0]
	v_pk_fma_f32 v[14:15], v[36:37], s[12:13], v[2:3]
	v_pk_mul_f32 v[8:9], v[38:39], s[46:47]
	v_mov_b32_e32 v23, v15
	s_mov_b32 s46, 0x3e3c28d5
	s_mov_b32 s41, s14
	v_pk_add_f32 v[24:25], v[22:23], v[20:21]
	v_pk_mul_f32 v[22:23], v[44:45], s[46:47] op_sel_hi:[1,0]
	v_mov_b32_e32 v84, v67
	v_pk_fma_f32 v[20:21], v[42:43], s[40:41], v[22:23] op_sel:[0,0,1] op_sel_hi:[1,0,0] neg_lo:[0,0,1] neg_hi:[0,0,1]
	v_pk_fma_f32 v[22:23], v[42:43], s[40:41], v[22:23] op_sel:[0,0,1] op_sel_hi:[1,0,0]
	v_mov_b32_e32 v85, v66
	s_mov_b32 s37, s24
	s_mov_b32 s25, s36
	v_mov_b32_e32 v26, v20
	v_mov_b32_e32 v27, v23
	v_pk_mul_f32 v[32:33], v[40:41], s[36:37]
	s_mov_b32 s37, s18
	v_pk_add_f32 v[28:29], v[26:27], v[24:25]
	v_pk_mul_f32 v[26:27], v[84:85], s[24:25] op_sel_hi:[1,0]
	s_mov_b32 s50, 0x3f2c7751
	v_pk_fma_f32 v[24:25], v[46:47], s[36:37], v[26:27] op_sel_hi:[1,0,1] neg_lo:[0,0,1] neg_hi:[0,0,1]
	v_pk_fma_f32 v[26:27], v[46:47], s[36:37], v[26:27] op_sel_hi:[1,0,1]
	v_mov_b32_e32 v30, v24
	v_mov_b32_e32 v31, v27
	v_pk_add_f32 v[34:35], v[30:31], v[28:29]
	s_mov_b32 s48, s39
	v_pk_mul_f32 v[30:31], v[82:83], s[50:51] op_sel_hi:[1,0]
	v_mov_b32_e32 v80, v77
	v_pk_fma_f32 v[28:29], v[48:49], s[48:49], v[30:31] op_sel_hi:[1,0,1] neg_lo:[0,0,1] neg_hi:[0,0,1]
	v_pk_fma_f32 v[30:31], v[48:49], s[48:49], v[30:31] op_sel_hi:[1,0,1]
	v_mov_b32_e32 v81, v76
	v_mov_b32_e32 v56, v28
	v_mov_b32_e32 v57, v31
	v_pk_add_f32 v[58:59], v[56:57], v[34:35]
	s_mov_b32 s52, s23
	v_pk_mul_f32 v[56:57], v[80:81], s[22:23] op_sel_hi:[1,0]
	v_mov_b32_e32 v78, v143
	v_pk_fma_f32 v[34:35], v[50:51], s[52:53], v[56:57] op_sel_hi:[1,0,1] neg_lo:[0,0,1] neg_hi:[0,0,1]
	v_pk_fma_f32 v[56:57], v[50:51], s[52:53], v[56:57] op_sel_hi:[1,0,1]
	v_mov_b32_e32 v79, v142
	;; [unrolled: 9-line block ×3, first 2 shown]
	s_mov_b32 s43, s30
	s_mov_b32 s31, s42
	v_mov_b32_e32 v64, v58
	v_mov_b32_e32 v65, v61
	v_pk_mul_f32 v[66:67], v[38:39], s[42:43]
	s_mov_b32 s43, s20
	v_pk_add_f32 v[88:89], v[64:65], v[62:63]
	v_pk_mul_f32 v[64:65], v[76:77], s[30:31] op_sel_hi:[1,0]
	s_mov_b32 s15, s40
	v_pk_fma_f32 v[62:63], v[54:55], s[42:43], v[64:65] op_sel_hi:[1,0,1] neg_lo:[0,0,1] neg_hi:[0,0,1]
	v_pk_fma_f32 v[64:65], v[54:55], s[42:43], v[64:65] op_sel_hi:[1,0,1]
	v_mov_b32_e32 v90, v62
	v_mov_b32_e32 v91, v65
	v_pk_add_f32 v[88:89], v[90:91], v[88:89]
	ds_write2_b64 v68, v[86:87], v[88:89] offset0:2 offset1:3
	v_pk_fma_f32 v[88:89], v[16:17], s[0:1], v[8:9] neg_lo:[1,0,0] neg_hi:[1,0,0]
	v_pk_fma_f32 v[86:87], v[16:17], s[0:1], v[8:9]
	v_pk_mul_f32 v[6:7], v[40:41], s[40:41]
	v_mov_b32_e32 v89, v87
	v_pk_add_f32 v[90:91], v[88:89], v[0:1]
	v_pk_fma_f32 v[92:93], v[106:107], s[14:15], v[6:7] neg_lo:[1,0,0] neg_hi:[1,0,0]
	v_pk_fma_f32 v[88:89], v[36:37], s[14:15], v[6:7]
	s_mov_b32 s45, s23
	v_mov_b32_e32 v93, v89
	v_pk_add_f32 v[94:95], v[92:93], v[90:91]
	v_pk_mul_f32 v[92:93], v[44:45], s[24:25] op_sel_hi:[1,0]
	s_mov_b32 s56, 0x3f4c4adb
	v_pk_fma_f32 v[90:91], v[42:43], s[36:37], v[92:93] op_sel:[0,0,1] op_sel_hi:[1,0,0] neg_lo:[0,0,1] neg_hi:[0,0,1]
	v_pk_fma_f32 v[92:93], v[42:43], s[36:37], v[92:93] op_sel:[0,0,1] op_sel_hi:[1,0,0]
	v_mov_b32_e32 v96, v90
	v_mov_b32_e32 v97, v93
	v_pk_add_f32 v[98:99], v[96:97], v[94:95]
	v_pk_mul_f32 v[96:97], v[84:85], s[44:45] op_sel_hi:[1,0]
	v_pk_mul_f32 v[10:11], v[38:39], s[36:37]
	v_pk_fma_f32 v[94:95], v[46:47], s[52:53], v[96:97] op_sel_hi:[1,0,1] neg_lo:[0,0,1] neg_hi:[0,0,1]
	v_pk_fma_f32 v[96:97], v[46:47], s[52:53], v[96:97] op_sel_hi:[1,0,1]
	v_mov_b32_e32 v100, v94
	v_mov_b32_e32 v101, v97
	v_pk_add_f32 v[102:103], v[100:101], v[98:99]
	v_pk_mul_f32 v[100:101], v[82:83], s[6:7] op_sel_hi:[1,0]
	s_mov_b32 s19, s36
	v_pk_fma_f32 v[98:99], v[48:49], s[26:27], v[100:101] op_sel_hi:[1,0,1] neg_lo:[0,0,1] neg_hi:[0,0,1]
	v_pk_fma_f32 v[100:101], v[48:49], s[26:27], v[100:101] op_sel_hi:[1,0,1]
	v_mov_b32_e32 v104, v98
	v_mov_b32_e32 v105, v101
	v_pk_add_f32 v[108:109], v[104:105], v[102:103]
	v_pk_mul_f32 v[104:105], v[80:81], s[30:31] op_sel_hi:[1,0]
	s_mov_b32 s21, s42
	v_pk_fma_f32 v[102:103], v[50:51], s[42:43], v[104:105] op_sel_hi:[1,0,1] neg_lo:[0,0,1] neg_hi:[0,0,1]
	v_pk_fma_f32 v[104:105], v[50:51], s[42:43], v[104:105] op_sel_hi:[1,0,1]
	v_mov_b32_e32 v110, v102
	v_mov_b32_e32 v111, v105
	v_pk_add_f32 v[112:113], v[110:111], v[108:109]
	v_pk_mul_f32 v[110:111], v[78:79], s[56:57] op_sel_hi:[1,0]
	v_pk_mul_f32 v[120:121], v[40:41], s[42:43]
	v_pk_fma_f32 v[108:109], v[52:53], s[28:29], v[110:111] op_sel_hi:[1,0,1] neg_lo:[0,0,1] neg_hi:[0,0,1]
	v_pk_fma_f32 v[110:111], v[52:53], s[28:29], v[110:111] op_sel_hi:[1,0,1]
	v_mov_b32_e32 v114, v108
	v_mov_b32_e32 v115, v111
	v_pk_add_f32 v[116:117], v[114:115], v[112:113]
	v_pk_mul_f32 v[114:115], v[76:77], s[50:51] op_sel_hi:[1,0]
	v_pk_fma_f32 v[124:125], v[106:107], s[20:21], v[120:121] neg_lo:[1,0,0] neg_hi:[1,0,0]
	v_pk_fma_f32 v[112:113], v[54:55], s[48:49], v[114:115] op_sel_hi:[1,0,1] neg_lo:[0,0,1] neg_hi:[0,0,1]
	v_pk_fma_f32 v[114:115], v[54:55], s[48:49], v[114:115] op_sel_hi:[1,0,1]
	v_mov_b32_e32 v118, v112
	v_mov_b32_e32 v119, v115
	v_pk_add_f32 v[148:149], v[118:119], v[116:117]
	v_pk_fma_f32 v[118:119], v[16:17], s[18:19], v[10:11] neg_lo:[1,0,0] neg_hi:[1,0,0]
	v_pk_fma_f32 v[116:117], v[16:17], s[18:19], v[10:11]
	s_mov_b32 s54, 0x3f7ee86f
	v_mov_b32_e32 v119, v117
	v_pk_add_f32 v[122:123], v[118:119], v[0:1]
	v_pk_fma_f32 v[118:119], v[36:37], s[20:21], v[120:121]
	v_pk_fma_f32 v[154:155], v[106:107], s[24:25], v[32:33] neg_lo:[1,0,0] neg_hi:[1,0,0]
	v_mov_b32_e32 v125, v119
	v_pk_add_f32 v[126:127], v[124:125], v[122:123]
	v_pk_mul_f32 v[124:125], v[44:45], s[50:51] op_sel_hi:[1,0]
	v_pk_fma_f32 v[156:157], v[36:37], s[24:25], v[32:33]
	v_pk_fma_f32 v[122:123], v[42:43], s[48:49], v[124:125] op_sel:[0,0,1] op_sel_hi:[1,0,0] neg_lo:[0,0,1] neg_hi:[0,0,1]
	v_pk_fma_f32 v[124:125], v[42:43], s[48:49], v[124:125] op_sel:[0,0,1] op_sel_hi:[1,0,0]
	v_mov_b32_e32 v128, v122
	v_mov_b32_e32 v129, v125
	v_pk_add_f32 v[130:131], v[128:129], v[126:127]
	v_pk_mul_f32 v[128:129], v[84:85], s[6:7] op_sel_hi:[1,0]
	v_mov_b32_e32 v155, v157
	v_pk_fma_f32 v[126:127], v[46:47], s[26:27], v[128:129] op_sel_hi:[1,0,1] neg_lo:[0,0,1] neg_hi:[0,0,1]
	v_pk_fma_f32 v[128:129], v[46:47], s[26:27], v[128:129] op_sel_hi:[1,0,1]
	v_mov_b32_e32 v132, v126
	v_mov_b32_e32 v133, v129
	v_pk_add_f32 v[134:135], v[132:133], v[130:131]
	v_pk_mul_f32 v[132:133], v[82:83], s[14:15] op_sel_hi:[1,0]
	s_mov_b32 s35, s26
	v_pk_fma_f32 v[130:131], v[48:49], s[40:41], v[132:133] op_sel_hi:[1,0,1] neg_lo:[0,0,1] neg_hi:[0,0,1]
	v_pk_fma_f32 v[132:133], v[48:49], s[40:41], v[132:133] op_sel_hi:[1,0,1]
	v_mov_b32_e32 v136, v130
	v_mov_b32_e32 v137, v133
	v_pk_add_f32 v[138:139], v[136:137], v[134:135]
	v_pk_mul_f32 v[136:137], v[80:81], s[54:55] op_sel_hi:[1,0]
	v_pk_fma_f32 v[184:185], v[16:17], s[30:31], v[66:67]
	v_pk_fma_f32 v[134:135], v[50:51], s[46:47], v[136:137] op_sel_hi:[1,0,1] neg_lo:[0,0,1] neg_hi:[0,0,1]
	v_pk_fma_f32 v[136:137], v[50:51], s[46:47], v[136:137] op_sel_hi:[1,0,1]
	v_mov_b32_e32 v140, v134
	v_mov_b32_e32 v141, v137
	v_pk_add_f32 v[142:143], v[140:141], v[138:139]
	v_pk_mul_f32 v[140:141], v[78:79], s[22:23] op_sel_hi:[1,0]
	v_pk_fma_f32 v[186:187], v[106:107], s[34:35], v[74:75] neg_lo:[1,0,0] neg_hi:[1,0,0]
	v_pk_fma_f32 v[138:139], v[52:53], s[52:53], v[140:141] op_sel_hi:[1,0,1] neg_lo:[0,0,1] neg_hi:[0,0,1]
	v_pk_fma_f32 v[140:141], v[52:53], s[52:53], v[140:141] op_sel_hi:[1,0,1]
	v_mov_b32_e32 v144, v138
	v_mov_b32_e32 v145, v141
	v_pk_add_f32 v[150:151], v[144:145], v[142:143]
	v_pk_mul_f32 v[144:145], v[76:77], s[12:13] op_sel_hi:[1,0]
	v_pk_fma_f32 v[188:189], v[36:37], s[34:35], v[74:75]
	v_pk_fma_f32 v[142:143], v[54:55], s[28:29], v[144:145] op_sel_hi:[1,0,1] neg_lo:[0,0,1] neg_hi:[0,0,1]
	v_pk_fma_f32 v[144:145], v[54:55], s[28:29], v[144:145] op_sel_hi:[1,0,1]
	v_mov_b32_e32 v152, v142
	v_mov_b32_e32 v153, v145
	v_pk_add_f32 v[150:151], v[152:153], v[150:151]
	ds_write2_b64 v68, v[148:149], v[150:151] offset0:4 offset1:5
	v_pk_mul_f32 v[148:149], v[38:39], s[28:29]
	v_mov_b32_e32 v187, v189
	v_pk_fma_f32 v[150:151], v[16:17], s[12:13], v[148:149] neg_lo:[1,0,0] neg_hi:[1,0,0]
	v_pk_fma_f32 v[152:153], v[16:17], s[12:13], v[148:149]
	v_pk_mul_f32 v[38:39], v[38:39], s[40:41]
	v_mov_b32_e32 v151, v153
	v_pk_add_f32 v[150:151], v[150:151], v[0:1]
	v_pk_fma_f32 v[32:33], v[36:37], s[24:25], v[32:33] neg_lo:[0,0,1] neg_hi:[0,0,1]
	v_pk_add_f32 v[150:151], v[154:155], v[150:151]
	v_pk_mul_f32 v[154:155], v[44:45], s[22:23] op_sel_hi:[1,0]
	v_mov_b32_e32 v157, v33
	v_pk_fma_f32 v[158:159], v[42:43], s[52:53], v[154:155] op_sel:[0,0,1] op_sel_hi:[1,0,0] neg_lo:[0,0,1] neg_hi:[0,0,1]
	v_pk_fma_f32 v[154:155], v[42:43], s[52:53], v[154:155] op_sel:[0,0,1] op_sel_hi:[1,0,0]
	v_mov_b32_e32 v162, v158
	v_mov_b32_e32 v163, v155
	v_pk_add_f32 v[150:151], v[162:163], v[150:151]
	v_pk_mul_f32 v[162:163], v[84:85], s[30:31] op_sel_hi:[1,0]
	v_mov_b32_e32 v155, v159
	v_pk_fma_f32 v[164:165], v[46:47], s[42:43], v[162:163] op_sel_hi:[1,0,1] neg_lo:[0,0,1] neg_hi:[0,0,1]
	v_pk_fma_f32 v[162:163], v[46:47], s[42:43], v[162:163] op_sel_hi:[1,0,1]
	v_mov_b32_e32 v166, v164
	v_mov_b32_e32 v167, v163
	v_pk_add_f32 v[150:151], v[166:167], v[150:151]
	v_pk_mul_f32 v[166:167], v[82:83], s[54:55] op_sel_hi:[1,0]
	v_mov_b32_e32 v163, v165
	v_pk_fma_f32 v[168:169], v[48:49], s[46:47], v[166:167] op_sel_hi:[1,0,1] neg_lo:[0,0,1] neg_hi:[0,0,1]
	v_pk_fma_f32 v[166:167], v[48:49], s[46:47], v[166:167] op_sel_hi:[1,0,1]
	;; [unrolled: 7-line block ×5, first 2 shown]
	v_mov_b32_e32 v182, v180
	v_mov_b32_e32 v183, v179
	v_pk_add_f32 v[150:151], v[182:183], v[150:151]
	v_pk_fma_f32 v[182:183], v[16:17], s[30:31], v[66:67] neg_lo:[1,0,0] neg_hi:[1,0,0]
	v_mov_b32_e32 v179, v181
	v_mov_b32_e32 v183, v185
	v_pk_add_f32 v[182:183], v[182:183], v[0:1]
	v_pk_fma_f32 v[10:11], v[16:17], s[18:19], v[10:11] neg_lo:[0,0,1] neg_hi:[0,0,1]
	v_pk_add_f32 v[182:183], v[186:187], v[182:183]
	v_pk_mul_f32 v[186:187], v[44:45], s[0:1] op_sel_hi:[1,0]
	v_pk_mul_f32 v[44:45], v[44:45], s[30:31] op_sel_hi:[1,0]
	v_pk_fma_f32 v[190:191], v[42:43], s[46:47], v[186:187] op_sel:[0,0,1] op_sel_hi:[1,0,0] neg_lo:[0,0,1] neg_hi:[0,0,1]
	v_pk_fma_f32 v[186:187], v[42:43], s[46:47], v[186:187] op_sel:[0,0,1] op_sel_hi:[1,0,0]
	v_mov_b32_e32 v192, v190
	v_mov_b32_e32 v193, v187
	v_pk_add_f32 v[182:183], v[192:193], v[182:183]
	v_pk_mul_f32 v[192:193], v[84:85], s[56:57] op_sel_hi:[1,0]
	v_pk_mul_f32 v[84:85], v[84:85], s[50:51] op_sel_hi:[1,0]
	v_pk_fma_f32 v[194:195], v[46:47], s[28:29], v[192:193] op_sel_hi:[1,0,1] neg_lo:[0,0,1] neg_hi:[0,0,1]
	v_pk_fma_f32 v[192:193], v[46:47], s[28:29], v[192:193] op_sel_hi:[1,0,1]
	v_mov_b32_e32 v196, v194
	v_mov_b32_e32 v197, v193
	v_pk_add_f32 v[182:183], v[196:197], v[182:183]
	v_pk_mul_f32 v[196:197], v[82:83], s[22:23] op_sel_hi:[1,0]
	s_mov_b32 s22, s23
	v_pk_fma_f32 v[198:199], v[48:49], s[52:53], v[196:197] op_sel_hi:[1,0,1] neg_lo:[0,0,1] neg_hi:[0,0,1]
	v_pk_fma_f32 v[196:197], v[48:49], s[52:53], v[196:197] op_sel_hi:[1,0,1]
	v_mov_b32_e32 v200, v198
	v_mov_b32_e32 v201, v197
	v_pk_add_f32 v[182:183], v[200:201], v[182:183]
	v_pk_mul_f32 v[200:201], v[80:81], s[14:15] op_sel_hi:[1,0]
	s_mov_b32 s23, s44
	v_pk_fma_f32 v[202:203], v[50:51], s[40:41], v[200:201] op_sel_hi:[1,0,1] neg_lo:[0,0,1] neg_hi:[0,0,1]
	v_pk_fma_f32 v[200:201], v[50:51], s[40:41], v[200:201] op_sel_hi:[1,0,1]
	v_mov_b32_e32 v204, v202
	v_mov_b32_e32 v205, v201
	v_pk_add_f32 v[182:183], v[204:205], v[182:183]
	v_pk_mul_f32 v[204:205], v[78:79], s[50:51] op_sel_hi:[1,0]
	v_pk_mul_f32 v[40:41], v[40:41], s[22:23]
	v_pk_fma_f32 v[206:207], v[52:53], s[48:49], v[204:205] op_sel_hi:[1,0,1] neg_lo:[0,0,1] neg_hi:[0,0,1]
	v_pk_fma_f32 v[204:205], v[52:53], s[48:49], v[204:205] op_sel_hi:[1,0,1]
	v_mov_b32_e32 v208, v206
	v_mov_b32_e32 v209, v205
	v_pk_add_f32 v[182:183], v[208:209], v[182:183]
	v_pk_mul_f32 v[208:209], v[76:77], s[18:19] op_sel_hi:[1,0]
	v_pk_fma_f32 v[106:107], v[106:107], s[44:45], v[40:41] neg_lo:[1,0,0] neg_hi:[1,0,0]
	v_pk_fma_f32 v[210:211], v[54:55], s[36:37], v[208:209] op_sel_hi:[1,0,1] neg_lo:[0,0,1] neg_hi:[0,0,1]
	v_pk_fma_f32 v[208:209], v[54:55], s[36:37], v[208:209] op_sel_hi:[1,0,1]
	v_mov_b32_e32 v212, v210
	v_mov_b32_e32 v213, v209
	v_pk_add_f32 v[182:183], v[212:213], v[182:183]
	ds_write2_b64 v68, v[150:151], v[182:183] offset0:6 offset1:7
	v_pk_fma_f32 v[150:151], v[16:17], s[14:15], v[38:39] neg_lo:[1,0,0] neg_hi:[1,0,0]
	v_pk_fma_f32 v[182:183], v[16:17], s[14:15], v[38:39]
	v_pk_fma_f32 v[212:213], v[36:37], s[44:45], v[40:41]
	v_mov_b32_e32 v151, v183
	v_pk_add_f32 v[150:151], v[150:151], v[0:1]
	v_mov_b32_e32 v107, v213
	v_pk_add_f32 v[106:107], v[106:107], v[150:151]
	v_pk_fma_f32 v[150:151], v[42:43], s[42:43], v[44:45] op_sel:[0,0,1] op_sel_hi:[1,0,0] neg_lo:[0,0,1] neg_hi:[0,0,1]
	v_pk_fma_f32 v[42:43], v[42:43], s[42:43], v[44:45] op_sel:[0,0,1] op_sel_hi:[1,0,0]
	v_mov_b32_e32 v44, v150
	v_mov_b32_e32 v45, v43
	v_pk_add_f32 v[44:45], v[44:45], v[106:107]
	v_pk_fma_f32 v[106:107], v[46:47], s[48:49], v[84:85] op_sel_hi:[1,0,1] neg_lo:[0,0,1] neg_hi:[0,0,1]
	v_pk_fma_f32 v[46:47], v[46:47], s[48:49], v[84:85] op_sel_hi:[1,0,1]
	v_mov_b32_e32 v84, v106
	v_mov_b32_e32 v85, v47
	v_pk_mul_f32 v[82:83], v[82:83], s[12:13] op_sel_hi:[1,0]
	v_pk_fma_f32 v[38:39], v[16:17], s[14:15], v[38:39] neg_lo:[0,0,1] neg_hi:[0,0,1]
	v_pk_add_f32 v[44:45], v[84:85], v[44:45]
	v_pk_fma_f32 v[84:85], v[48:49], s[28:29], v[82:83] op_sel_hi:[1,0,1] neg_lo:[0,0,1] neg_hi:[0,0,1]
	v_pk_fma_f32 v[48:49], v[48:49], s[28:29], v[82:83] op_sel_hi:[1,0,1]
	v_mov_b32_e32 v183, v39
	v_pk_fma_f32 v[38:39], v[36:37], s[44:45], v[40:41] neg_lo:[0,0,1] neg_hi:[0,0,1]
	v_mov_b32_e32 v82, v84
	v_mov_b32_e32 v83, v49
	v_pk_mul_f32 v[80:81], v[80:81], s[34:35] op_sel_hi:[1,0]
	v_mov_b32_e32 v213, v39
	v_pk_add_f32 v[38:39], v[182:183], v[0:1]
	v_pk_add_f32 v[44:45], v[82:83], v[44:45]
	v_pk_fma_f32 v[82:83], v[50:51], s[26:27], v[80:81] op_sel_hi:[1,0,1] neg_lo:[0,0,1] neg_hi:[0,0,1]
	v_pk_fma_f32 v[50:51], v[50:51], s[26:27], v[80:81] op_sel_hi:[1,0,1]
	v_pk_add_f32 v[38:39], v[212:213], v[38:39]
	v_mov_b32_e32 v43, v151
	v_mov_b32_e32 v80, v82
	;; [unrolled: 1-line block ×3, first 2 shown]
	v_pk_mul_f32 v[78:79], v[78:79], s[18:19] op_sel_hi:[1,0]
	v_pk_add_f32 v[38:39], v[42:43], v[38:39]
	v_mov_b32_e32 v47, v107
	v_pk_add_f32 v[44:45], v[80:81], v[44:45]
	v_pk_fma_f32 v[80:81], v[52:53], s[36:37], v[78:79] op_sel_hi:[1,0,1] neg_lo:[0,0,1] neg_hi:[0,0,1]
	v_pk_fma_f32 v[52:53], v[52:53], s[36:37], v[78:79] op_sel_hi:[1,0,1]
	v_pk_add_f32 v[38:39], v[46:47], v[38:39]
	v_mov_b32_e32 v49, v85
	v_mov_b32_e32 v78, v80
	;; [unrolled: 1-line block ×3, first 2 shown]
	v_pk_mul_f32 v[76:77], v[76:77], s[54:55] op_sel_hi:[1,0]
	v_pk_add_f32 v[38:39], v[48:49], v[38:39]
	v_mov_b32_e32 v51, v83
	v_pk_add_f32 v[44:45], v[78:79], v[44:45]
	v_pk_fma_f32 v[78:79], v[54:55], s[46:47], v[76:77] op_sel_hi:[1,0,1] neg_lo:[0,0,1] neg_hi:[0,0,1]
	v_pk_fma_f32 v[54:55], v[54:55], s[46:47], v[76:77] op_sel_hi:[1,0,1]
	v_pk_add_f32 v[38:39], v[50:51], v[38:39]
	v_mov_b32_e32 v53, v81
	v_mov_b32_e32 v76, v78
	;; [unrolled: 1-line block ×3, first 2 shown]
	v_pk_add_f32 v[38:39], v[52:53], v[38:39]
	v_mov_b32_e32 v55, v79
	v_pk_add_f32 v[44:45], v[76:77], v[44:45]
	v_pk_add_f32 v[38:39], v[54:55], v[38:39]
	ds_write2_b64 v68, v[44:45], v[38:39] offset0:8 offset1:9
	v_pk_fma_f32 v[38:39], v[16:17], s[30:31], v[66:67] neg_lo:[0,0,1] neg_hi:[0,0,1]
	v_pk_fma_f32 v[40:41], v[16:17], s[12:13], v[148:149] neg_lo:[0,0,1] neg_hi:[0,0,1]
	v_mov_b32_e32 v185, v39
	v_pk_fma_f32 v[38:39], v[36:37], s[34:35], v[74:75] neg_lo:[0,0,1] neg_hi:[0,0,1]
	v_mov_b32_e32 v153, v41
	v_mov_b32_e32 v189, v39
	v_pk_add_f32 v[38:39], v[184:185], v[0:1]
	v_pk_add_f32 v[32:33], v[152:153], v[0:1]
	;; [unrolled: 1-line block ×3, first 2 shown]
	v_mov_b32_e32 v187, v191
	v_pk_add_f32 v[32:33], v[156:157], v[32:33]
	v_pk_add_f32 v[38:39], v[186:187], v[38:39]
	v_mov_b32_e32 v193, v195
	v_pk_add_f32 v[32:33], v[154:155], v[32:33]
	v_pk_add_f32 v[38:39], v[192:193], v[38:39]
	;; [unrolled: 3-line block ×6, first 2 shown]
	v_pk_add_f32 v[32:33], v[178:179], v[32:33]
	v_pk_fma_f32 v[8:9], v[16:17], s[0:1], v[8:9] neg_lo:[0,0,1] neg_hi:[0,0,1]
	v_pk_fma_f32 v[4:5], v[16:17], s[6:7], v[4:5] neg_lo:[0,0,1] neg_hi:[0,0,1]
	ds_write2_b64 v68, v[38:39], v[32:33] offset0:10 offset1:11
	v_mov_b32_e32 v117, v11
	v_pk_fma_f32 v[32:33], v[36:37], s[20:21], v[120:121] neg_lo:[0,0,1] neg_hi:[0,0,1]
	v_mov_b32_e32 v87, v9
	v_pk_fma_f32 v[6:7], v[36:37], s[14:15], v[6:7] neg_lo:[0,0,1] neg_hi:[0,0,1]
	;; [unrolled: 2-line block ×3, first 2 shown]
	v_pk_add_f32 v[10:11], v[116:117], v[0:1]
	v_mov_b32_e32 v119, v33
	v_pk_add_f32 v[8:9], v[86:87], v[0:1]
	v_mov_b32_e32 v89, v7
	;; [unrolled: 2-line block ×21, first 2 shown]
	v_pk_add_f32 v[10:11], v[144:145], v[10:11]
	v_pk_add_f32 v[6:7], v[114:115], v[6:7]
	;; [unrolled: 1-line block ×3, first 2 shown]
	ds_write2_b64 v68, v[10:11], v[6:7] offset0:12 offset1:13
	ds_write2_b64 v68, v[0:1], v[18:19] offset0:14 offset1:15
	ds_write_b64 v68, v[72:73] offset:128
.LBB0_7:
	s_or_b64 exec, exec, s[16:17]
	v_lshlrev_b32_e32 v16, 5, v214
	s_load_dwordx4 s[4:7], s[4:5], 0x0
	s_waitcnt lgkmcnt(0)
	; wave barrier
	s_waitcnt lgkmcnt(0)
	global_load_dwordx4 v[4:7], v16, s[10:11]
	global_load_dwordx4 v[0:3], v16, s[10:11] offset:16
	v_lshl_add_u64 v[28:29], v[214:215], 0, 34
	s_movk_i32 s0, 0xf1
	v_mul_lo_u16_sdwa v8, v28, s0 dst_sel:DWORD dst_unused:UNUSED_PAD src0_sel:BYTE_0 src1_sel:DWORD
	v_lshrrev_b16_e32 v8, 12, v8
	v_mul_lo_u16_e32 v8, 17, v8
	v_sub_u16_e32 v17, v28, v8
	v_lshlrev_b16_e32 v8, 2, v17
	v_and_b32_e32 v8, 0xfc, v8
	v_lshlrev_b32_e32 v20, 3, v8
	global_load_dwordx4 v[12:15], v20, s[10:11]
	global_load_dwordx4 v[8:11], v20, s[10:11] offset:16
	v_add_lshl_u32 v161, v216, v214, 3
	ds_read2_b64 v[20:23], v161 offset1:17
	ds_read2_b64 v[24:27], v161 offset0:34 offset1:51
	ds_read2_b64 v[30:33], v161 offset0:102 offset1:119
	;; [unrolled: 1-line block ×6, first 2 shown]
	ds_read_b64 v[50:51], v161 offset:1904
	s_mov_b32 s0, 0x3f737871
	s_mov_b32 s12, 0x3f167918
	;; [unrolled: 1-line block ×3, first 2 shown]
	s_waitcnt lgkmcnt(0)
	; wave barrier
	s_waitcnt lgkmcnt(0)
	v_and_b32_e32 v17, 0xff, v17
	v_add_lshl_u32 v148, v216, v17, 3
	v_lshlrev_b32_e32 v70, 4, v214
	v_add_u32_e32 v17, 0x110, v70
	v_lshl_add_u32 v103, v214, 3, v146
	s_waitcnt vmcnt(3)
	v_pk_mul_f32 v[52:53], v[26:27], v[4:5] op_sel:[0,1]
	v_mov_b32_e32 v54, v7
	s_waitcnt vmcnt(2)
	v_pk_mul_f32 v[56:57], v[36:37], v[0:1] op_sel:[0,1]
	v_mov_b32_e32 v58, v3
	v_pk_fma_f32 v[60:61], v[26:27], v[4:5], v[52:53] op_sel:[0,0,1] op_sel_hi:[1,1,0] neg_lo:[0,0,1] neg_hi:[0,0,1]
	v_pk_fma_f32 v[26:27], v[26:27], v[4:5], v[52:53] op_sel:[0,0,1] op_sel_hi:[1,0,0]
	v_pk_mul_f32 v[52:53], v[30:31], v[54:55] op_sel_hi:[1,0]
	v_pk_fma_f32 v[62:63], v[36:37], v[0:1], v[56:57] op_sel:[0,0,1] op_sel_hi:[1,1,0] neg_lo:[0,0,1] neg_hi:[0,0,1]
	v_pk_fma_f32 v[36:37], v[36:37], v[0:1], v[56:57] op_sel:[0,0,1] op_sel_hi:[1,0,0]
	v_pk_mul_f32 v[56:57], v[38:39], v[58:59] op_sel_hi:[1,0]
	v_mov_b32_e32 v61, v27
	v_pk_fma_f32 v[26:27], v[30:31], v[6:7], v[52:53] op_sel:[0,0,1] op_sel_hi:[1,1,0] neg_lo:[0,0,1] neg_hi:[0,0,1]
	v_pk_fma_f32 v[30:31], v[30:31], v[6:7], v[52:53] op_sel:[0,0,1] op_sel_hi:[1,0,0]
	v_mov_b32_e32 v63, v37
	v_pk_fma_f32 v[36:37], v[38:39], v[2:3], v[56:57] op_sel:[0,0,1] op_sel_hi:[1,1,0] neg_lo:[0,0,1] neg_hi:[0,0,1]
	v_pk_fma_f32 v[38:39], v[38:39], v[2:3], v[56:57] op_sel:[0,0,1] op_sel_hi:[1,0,0]
	v_mov_b32_e32 v27, v31
	v_mov_b32_e32 v37, v39
	v_pk_add_f32 v[30:31], v[20:21], v[60:61]
	v_pk_add_f32 v[38:39], v[26:27], v[62:63]
	;; [unrolled: 1-line block ×3, first 2 shown]
	v_pk_add_f32 v[52:53], v[60:61], v[36:37] neg_lo:[0,1] neg_hi:[0,1]
	v_pk_add_f32 v[56:57], v[26:27], v[62:63] neg_lo:[0,1] neg_hi:[0,1]
	;; [unrolled: 1-line block ×4, first 2 shown]
	v_pk_add_f32 v[68:69], v[60:61], v[36:37]
	v_pk_add_f32 v[26:27], v[26:27], v[60:61] neg_lo:[0,1] neg_hi:[0,1]
	v_pk_add_f32 v[60:61], v[62:63], v[36:37] neg_lo:[0,1] neg_hi:[0,1]
	v_pk_add_f32 v[30:31], v[30:31], v[62:63]
	v_pk_fma_f32 v[38:39], v[38:39], 0.5, v[20:21] op_sel_hi:[1,0,1] neg_lo:[1,0,0] neg_hi:[1,0,0]
	v_pk_mul_f32 v[62:63], v[52:53], s[0:1] op_sel_hi:[1,0]
	v_pk_mul_f32 v[74:75], v[56:57], s[12:13] op_sel_hi:[1,0]
	v_pk_fma_f32 v[20:21], v[68:69], 0.5, v[20:21] op_sel_hi:[1,0,1] neg_lo:[1,0,0] neg_hi:[1,0,0]
	v_pk_add_f32 v[30:31], v[30:31], v[36:37]
	v_pk_add_f32 v[36:37], v[38:39], v[62:63] op_sel:[0,1] op_sel_hi:[1,0]
	v_pk_add_f32 v[38:39], v[38:39], v[62:63] op_sel:[0,1] op_sel_hi:[1,0] neg_lo:[0,1] neg_hi:[0,1]
	v_pk_mul_f32 v[68:69], v[42:43], v[4:5] op_sel:[0,1]
	v_pk_mul_f32 v[56:57], v[56:57], s[0:1] op_sel_hi:[1,0]
	v_pk_add_f32 v[38:39], v[38:39], v[74:75] op_sel:[0,1] op_sel_hi:[1,0] neg_lo:[0,1] neg_hi:[0,1]
	v_pk_add_f32 v[36:37], v[36:37], v[74:75] op_sel:[0,1] op_sel_hi:[1,0]
	v_pk_fma_f32 v[74:75], v[42:43], v[4:5], v[68:69] op_sel:[0,0,1] op_sel_hi:[1,1,0] neg_lo:[0,0,1] neg_hi:[0,0,1]
	v_pk_fma_f32 v[42:43], v[42:43], v[4:5], v[68:69] op_sel:[0,0,1] op_sel_hi:[1,0,0]
	v_pk_add_f32 v[26:27], v[26:27], v[60:61]
	v_pk_mul_f32 v[52:53], v[52:53], s[12:13] op_sel_hi:[1,0]
	v_pk_add_f32 v[60:61], v[20:21], v[56:57] op_sel:[0,1] op_sel_hi:[1,0] neg_lo:[0,1] neg_hi:[0,1]
	v_pk_add_f32 v[20:21], v[20:21], v[56:57] op_sel:[0,1] op_sel_hi:[1,0]
	v_mov_b32_e32 v75, v43
	v_pk_mul_f32 v[42:43], v[32:33], v[54:55] op_sel_hi:[1,0]
	v_pk_add_f32 v[20:21], v[20:21], v[52:53] op_sel:[0,1] op_sel_hi:[1,0] neg_lo:[0,1] neg_hi:[0,1]
	v_pk_add_f32 v[52:53], v[60:61], v[52:53] op_sel:[0,1] op_sel_hi:[1,0]
	v_pk_fma_f32 v[54:55], v[32:33], v[6:7], v[42:43] op_sel:[0,0,1] op_sel_hi:[1,1,0] neg_lo:[0,0,1] neg_hi:[0,0,1]
	v_pk_fma_f32 v[32:33], v[32:33], v[6:7], v[42:43] op_sel:[0,0,1] op_sel_hi:[1,0,0]
	v_pk_add_f32 v[64:65], v[64:65], v[66:67]
	v_mov_b32_e32 v60, v36
	v_mov_b32_e32 v61, v39
	;; [unrolled: 1-line block ×5, first 2 shown]
	v_pk_mul_f32 v[32:33], v[46:47], v[0:1] op_sel:[0,1]
	s_waitcnt vmcnt(1)
	v_pk_mul_f32 v[56:57], v[44:45], v[12:13] op_sel:[0,1]
	v_mov_b32_e32 v62, v52
	v_mov_b32_e32 v39, v37
	v_pk_fma_f32 v[52:53], v[64:65], s[14:15], v[60:61] op_sel_hi:[1,0,1]
	v_pk_fma_f32 v[20:21], v[26:27], s[14:15], v[20:21] op_sel_hi:[1,0,1]
	v_pk_fma_f32 v[42:43], v[46:47], v[0:1], v[32:33] op_sel:[0,0,1] op_sel_hi:[1,1,0] neg_lo:[0,0,1] neg_hi:[0,0,1]
	v_pk_fma_f32 v[32:33], v[46:47], v[0:1], v[32:33] op_sel:[0,0,1] op_sel_hi:[1,0,0]
	v_pk_fma_f32 v[36:37], v[44:45], v[12:13], v[56:57] op_sel:[0,0,1] op_sel_hi:[1,1,0] neg_lo:[0,0,1] neg_hi:[0,0,1]
	v_pk_fma_f32 v[44:45], v[44:45], v[12:13], v[56:57] op_sel:[0,0,1] op_sel_hi:[1,0,0]
	v_pk_fma_f32 v[56:57], v[26:27], s[14:15], v[62:63] op_sel_hi:[1,0,1]
	v_pk_fma_f32 v[26:27], v[64:65], s[14:15], v[38:39] op_sel_hi:[1,0,1]
	v_mov_b32_e32 v38, v15
	v_mov_b32_e32 v43, v33
	v_pk_mul_f32 v[32:33], v[40:41], v[58:59] op_sel_hi:[1,0]
	ds_write2_b64 v161, v[30:31], v[52:53] offset1:17
	ds_write2_b64 v161, v[56:57], v[20:21] offset0:34 offset1:51
	v_pk_add_f32 v[20:21], v[22:23], v[74:75]
	v_pk_mul_f32 v[38:39], v[34:35], v[38:39] op_sel_hi:[1,0]
	v_pk_fma_f32 v[46:47], v[40:41], v[2:3], v[32:33] op_sel:[0,0,1] op_sel_hi:[1,1,0] neg_lo:[0,0,1] neg_hi:[0,0,1]
	v_pk_fma_f32 v[32:33], v[40:41], v[2:3], v[32:33] op_sel:[0,0,1] op_sel_hi:[1,0,0]
	v_pk_add_f32 v[20:21], v[20:21], v[54:55]
	v_mov_b32_e32 v37, v45
	v_pk_fma_f32 v[44:45], v[34:35], v[14:15], v[38:39] op_sel:[0,0,1] op_sel_hi:[1,1,0] neg_lo:[0,0,1] neg_hi:[0,0,1]
	v_pk_fma_f32 v[34:35], v[34:35], v[14:15], v[38:39] op_sel:[0,0,1] op_sel_hi:[1,0,0]
	v_mov_b32_e32 v47, v33
	v_pk_add_f32 v[20:21], v[20:21], v[42:43]
	v_mov_b32_e32 v45, v35
	s_waitcnt vmcnt(0)
	v_pk_mul_f32 v[34:35], v[48:49], v[8:9] op_sel:[0,1]
	v_pk_add_f32 v[32:33], v[54:55], v[42:43]
	v_pk_add_f32 v[20:21], v[20:21], v[46:47]
	v_pk_fma_f32 v[38:39], v[48:49], v[8:9], v[34:35] op_sel:[0,0,1] op_sel_hi:[1,1,0] neg_lo:[0,0,1] neg_hi:[0,0,1]
	v_pk_fma_f32 v[34:35], v[48:49], v[8:9], v[34:35] op_sel:[0,0,1] op_sel_hi:[1,0,0]
	v_pk_fma_f32 v[32:33], v[32:33], 0.5, v[22:23] op_sel_hi:[1,0,1] neg_lo:[1,0,0] neg_hi:[1,0,0]
	v_pk_add_f32 v[40:41], v[74:75], v[46:47] neg_lo:[0,1] neg_hi:[0,1]
	v_pk_add_f32 v[68:69], v[74:75], v[54:55] neg_lo:[0,1] neg_hi:[0,1]
	v_pk_add_f32 v[76:77], v[46:47], v[42:43] neg_lo:[0,1] neg_hi:[0,1]
	ds_write2_b64 v161, v[26:27], v[20:21] offset0:68 offset1:85
	v_pk_add_f32 v[26:27], v[74:75], v[46:47]
	v_mov_b32_e32 v34, v11
	v_pk_add_f32 v[58:59], v[54:55], v[42:43] neg_lo:[0,1] neg_hi:[0,1]
	v_pk_add_f32 v[68:69], v[68:69], v[76:77]
	v_pk_fma_f32 v[76:77], v[40:41], s[0:1], v[32:33] op_sel:[1,0,0] op_sel_hi:[0,0,1] neg_lo:[1,0,0] neg_hi:[1,0,0]
	v_pk_fma_f32 v[32:33], v[40:41], s[0:1], v[32:33] op_sel:[1,0,0] op_sel_hi:[0,0,1]
	v_pk_fma_f32 v[22:23], v[26:27], 0.5, v[22:23] op_sel_hi:[1,0,1] neg_lo:[1,0,0] neg_hi:[1,0,0]
	v_pk_add_f32 v[26:27], v[54:55], v[74:75] neg_lo:[0,1] neg_hi:[0,1]
	v_pk_add_f32 v[30:31], v[42:43], v[46:47] neg_lo:[0,1] neg_hi:[0,1]
	v_mov_b32_e32 v39, v35
	v_pk_mul_f32 v[34:35], v[50:51], v[34:35] op_sel_hi:[1,0]
	v_pk_fma_f32 v[32:33], v[58:59], s[12:13], v[32:33] op_sel:[1,0,0] op_sel_hi:[0,0,1]
	v_pk_fma_f32 v[76:77], v[58:59], s[12:13], v[76:77] op_sel:[1,0,0] op_sel_hi:[0,0,1] neg_lo:[1,0,0] neg_hi:[1,0,0]
	v_pk_add_f32 v[26:27], v[26:27], v[30:31]
	v_pk_fma_f32 v[30:31], v[58:59], s[0:1], v[22:23] op_sel:[1,0,0] op_sel_hi:[0,0,1]
	v_pk_fma_f32 v[22:23], v[58:59], s[0:1], v[22:23] op_sel:[1,0,0] op_sel_hi:[0,0,1] neg_lo:[1,0,0] neg_hi:[1,0,0]
	v_pk_fma_f32 v[48:49], v[50:51], v[10:11], v[34:35] op_sel:[0,0,1] op_sel_hi:[1,1,0] neg_lo:[0,0,1] neg_hi:[0,0,1]
	v_pk_fma_f32 v[34:35], v[50:51], v[10:11], v[34:35] op_sel:[0,0,1] op_sel_hi:[1,0,0]
	v_mov_b32_e32 v79, v33
	v_mov_b32_e32 v33, v77
	v_pk_fma_f32 v[22:23], v[40:41], s[12:13], v[22:23] op_sel:[1,0,0] op_sel_hi:[0,0,1]
	v_pk_fma_f32 v[30:31], v[40:41], s[12:13], v[30:31] op_sel:[1,0,0] op_sel_hi:[0,0,1] neg_lo:[1,0,0] neg_hi:[1,0,0]
	v_mov_b32_e32 v49, v35
	v_pk_add_f32 v[34:35], v[44:45], v[38:39]
	v_pk_fma_f32 v[20:21], v[68:69], s[14:15], v[32:33] op_sel_hi:[1,0,1]
	v_mov_b32_e32 v33, v23
	v_mov_b32_e32 v23, v31
	v_pk_fma_f32 v[34:35], v[34:35], 0.5, v[24:25] op_sel_hi:[1,0,1] neg_lo:[1,0,0] neg_hi:[1,0,0]
	v_pk_add_f32 v[50:51], v[36:37], v[48:49] neg_lo:[0,1] neg_hi:[0,1]
	v_pk_add_f32 v[62:63], v[36:37], v[44:45] neg_lo:[0,1] neg_hi:[0,1]
	;; [unrolled: 1-line block ×3, first 2 shown]
	v_mov_b32_e32 v78, v76
	v_mov_b32_e32 v32, v30
	v_pk_fma_f32 v[22:23], v[26:27], s[14:15], v[22:23] op_sel_hi:[1,0,1]
	v_pk_add_f32 v[60:61], v[44:45], v[38:39] neg_lo:[0,1] neg_hi:[0,1]
	v_pk_add_f32 v[62:63], v[62:63], v[64:65]
	v_pk_fma_f32 v[64:65], v[50:51], s[0:1], v[34:35] op_sel:[1,0,0] op_sel_hi:[0,0,1] neg_lo:[1,0,0] neg_hi:[1,0,0]
	v_pk_fma_f32 v[34:35], v[50:51], s[0:1], v[34:35] op_sel:[1,0,0] op_sel_hi:[0,0,1]
	v_pk_fma_f32 v[78:79], v[68:69], s[14:15], v[78:79] op_sel_hi:[1,0,1]
	v_pk_fma_f32 v[32:33], v[26:27], s[14:15], v[32:33] op_sel_hi:[1,0,1]
	ds_write2_b64 v161, v[20:21], v[22:23] offset0:102 offset1:119
	ds_write2_b64 v161, v[32:33], v[78:79] offset0:136 offset1:153
	v_pk_add_f32 v[20:21], v[24:25], v[36:37]
	v_pk_fma_f32 v[34:35], v[60:61], s[12:13], v[34:35] op_sel:[1,0,0] op_sel_hi:[0,0,1]
	v_pk_fma_f32 v[64:65], v[60:61], s[12:13], v[64:65] op_sel:[1,0,0] op_sel_hi:[0,0,1] neg_lo:[1,0,0] neg_hi:[1,0,0]
	v_pk_add_f32 v[20:21], v[20:21], v[44:45]
	v_mov_b32_e32 v67, v35
	v_pk_add_f32 v[20:21], v[20:21], v[38:39]
	v_mov_b32_e32 v35, v65
	v_pk_add_f32 v[20:21], v[20:21], v[48:49]
	v_pk_fma_f32 v[22:23], v[62:63], s[14:15], v[34:35] op_sel_hi:[1,0,1]
	ds_write2_b64 v148, v[20:21], v[22:23] offset0:170 offset1:187
	v_pk_add_f32 v[20:21], v[36:37], v[48:49]
	v_pk_add_f32 v[22:23], v[44:45], v[36:37] neg_lo:[0,1] neg_hi:[0,1]
	v_pk_fma_f32 v[20:21], v[20:21], 0.5, v[24:25] op_sel_hi:[1,0,1] neg_lo:[1,0,0] neg_hi:[1,0,0]
	v_pk_add_f32 v[24:25], v[38:39], v[48:49] neg_lo:[0,1] neg_hi:[0,1]
	v_mov_b32_e32 v66, v64
	v_pk_add_f32 v[22:23], v[22:23], v[24:25]
	v_pk_fma_f32 v[24:25], v[60:61], s[0:1], v[20:21] op_sel:[1,0,0] op_sel_hi:[0,0,1]
	v_pk_fma_f32 v[20:21], v[60:61], s[0:1], v[20:21] op_sel:[1,0,0] op_sel_hi:[0,0,1] neg_lo:[1,0,0] neg_hi:[1,0,0]
	v_pk_fma_f32 v[20:21], v[50:51], s[12:13], v[20:21] op_sel:[1,0,0] op_sel_hi:[0,0,1]
	v_pk_fma_f32 v[24:25], v[50:51], s[12:13], v[24:25] op_sel:[1,0,0] op_sel_hi:[0,0,1] neg_lo:[1,0,0] neg_hi:[1,0,0]
	v_mov_b32_e32 v26, v24
	v_mov_b32_e32 v27, v21
	;; [unrolled: 1-line block ×3, first 2 shown]
	v_pk_fma_f32 v[26:27], v[22:23], s[14:15], v[26:27] op_sel_hi:[1,0,1]
	v_pk_fma_f32 v[20:21], v[22:23], s[14:15], v[20:21] op_sel_hi:[1,0,1]
	;; [unrolled: 1-line block ×3, first 2 shown]
	ds_write2_b64 v148, v[20:21], v[26:27] offset0:204 offset1:221
	ds_write_b64 v148, v[66:67] offset:1904
	s_waitcnt lgkmcnt(0)
	; wave barrier
	s_waitcnt lgkmcnt(0)
	global_load_dwordx4 v[24:27], v17, s[10:11] offset:544
	v_add_u32_e32 v17, 0x330, v70
	global_load_dwordx4 v[20:23], v17, s[10:11] offset:544
	v_mov_b32_e32 v17, 0
	v_lshl_add_u64 v[16:17], s[10:11], 0, v[16:17]
	v_sub_co_u32_e64 v16, s[0:1], v16, v70
	s_waitcnt vmcnt(1)
	v_mov_b32_e32 v34, v25
	v_subbrev_co_u32_e64 v17, s[0:1], 0, v17, s[0:1]
	global_load_dwordx4 v[36:39], v[16:17], off offset:544
	v_lshlrev_b32_e32 v16, 4, v28
	global_load_dwordx4 v[28:31], v16, s[10:11] offset:544
	ds_read2_b64 v[44:47], v161 offset0:102 offset1:119
	ds_read2_b64 v[66:69], v161 offset0:68 offset1:85
	;; [unrolled: 1-line block ×5, first 2 shown]
	s_waitcnt lgkmcnt(4)
	v_mov_b32_e32 v32, v45
	v_pk_mul_f32 v[34:35], v[44:45], v[34:35]
	v_pk_mul_f32 v[16:17], v[44:45], v[24:25]
	v_pk_fma_f32 v[54:55], v[32:33], v[24:25], v[34:35]
	v_mov_b32_e32 v33, v26
	s_waitcnt lgkmcnt(2)
	v_pk_mul_f32 v[32:33], v[42:43], v[32:33] op_sel:[1,0] op_sel_hi:[0,1]
	v_pk_mul_f32 v[34:35], v[42:43], v[26:27]
	v_mov_b32_e32 v32, v16
	v_mov_b32_e32 v34, v17
	v_pk_add_f32 v[16:17], v[32:33], v[34:35] neg_lo:[0,1] neg_hi:[0,1]
	v_pk_mul_f32 v[32:33], v[42:43], v[26:27] op_sel:[1,0] op_sel_hi:[0,1]
	v_add_u32_e32 v32, 0x440, v70
	v_mov_b32_e32 v44, v33
	global_load_dwordx4 v[32:35], v32, s[10:11] offset:544
	v_pk_fma_f32 v[64:65], v[42:43], v[26:27], v[44:45] op_sel:[1,0,0] op_sel_hi:[0,1,1]
	s_waitcnt vmcnt(3)
	v_mov_b32_e32 v42, v21
	s_waitcnt lgkmcnt(1)
	v_pk_mul_f32 v[42:43], v[56:57], v[42:43] op_sel:[1,0] op_sel_hi:[0,1]
	v_pk_fma_f32 v[74:75], v[56:57], v[20:21], v[42:43] neg_lo:[0,0,1] neg_hi:[0,0,1]
	v_pk_mul_f32 v[42:43], v[56:57], v[20:21] op_sel:[1,0] op_sel_hi:[0,1]
	v_mov_b32_e32 v43, v42
	v_pk_fma_f32 v[76:77], v[56:57], v[20:21], v[42:43] op_sel:[1,0,0] op_sel_hi:[0,1,1]
	v_mov_b32_e32 v42, v23
	s_waitcnt lgkmcnt(0)
	v_pk_mul_f32 v[42:43], v[50:51], v[42:43] op_sel:[1,0] op_sel_hi:[0,1]
	v_pk_fma_f32 v[78:79], v[50:51], v[22:23], v[42:43] neg_lo:[0,0,1] neg_hi:[0,0,1]
	v_pk_mul_f32 v[42:43], v[50:51], v[22:23] op_sel:[1,0] op_sel_hi:[0,1]
	v_mov_b32_e32 v43, v42
	v_pk_fma_f32 v[80:81], v[50:51], v[22:23], v[42:43] op_sel:[1,0,0] op_sel_hi:[0,1,1]
	ds_read2_b64 v[50:53], v161 offset1:17
	s_mov_b32 s0, 0x3f5db3d7
	v_pk_add_f32 v[84:85], v[54:55], v[64:65]
	v_mov_b32_e32 v55, v16
	v_mov_b32_e32 v65, v17
	;; [unrolled: 1-line block ×4, first 2 shown]
	s_waitcnt vmcnt(2)
	v_pk_mul_f32 v[42:43], v[68:69], v[36:37] op_sel:[0,1]
	s_nop 0
	v_pk_fma_f32 v[44:45], v[68:69], v[36:37], v[42:43] op_sel:[1,0,0] op_sel_hi:[0,1,1]
	v_pk_fma_f32 v[42:43], v[68:69], v[36:37], v[42:43] op_sel:[1,0,0] op_sel_hi:[0,0,1] neg_lo:[0,0,1] neg_hi:[0,0,1]
	v_mov_b32_e32 v42, v39
	v_pk_mul_f32 v[56:57], v[40:41], v[42:43] op_sel_hi:[1,0]
	s_waitcnt vmcnt(1)
	v_pk_mul_f32 v[86:87], v[46:47], v[28:29] op_sel:[0,1]
	v_pk_fma_f32 v[60:61], v[40:41], v[38:39], v[56:57] op_sel:[1,0,0] op_sel_hi:[0,1,1]
	v_pk_fma_f32 v[40:41], v[40:41], v[38:39], v[56:57] op_sel:[1,0,0] op_sel_hi:[0,0,1] neg_lo:[0,0,1] neg_hi:[0,0,1]
	v_mov_b32_e32 v61, v41
	v_mov_b32_e32 v56, v43
	;; [unrolled: 1-line block ×5, first 2 shown]
	v_pk_fma_f32 v[88:89], v[46:47], v[28:29], v[86:87] op_sel:[0,0,1] op_sel_hi:[1,1,0] neg_lo:[0,0,1] neg_hi:[0,0,1]
	v_pk_fma_f32 v[46:47], v[46:47], v[28:29], v[86:87] op_sel:[0,0,1] op_sel_hi:[1,0,0]
	v_mov_b32_e32 v45, v43
	v_pk_add_f32 v[42:43], v[56:57], v[40:41]
	v_mov_b32_e32 v46, v31
	s_waitcnt lgkmcnt(0)
	v_pk_fma_f32 v[42:43], v[42:43], 0.5, v[50:51] op_sel_hi:[1,0,1] neg_lo:[1,0,0] neg_hi:[1,0,0]
	v_pk_add_f32 v[44:45], v[44:45], v[60:61] neg_lo:[0,1] neg_hi:[0,1]
	v_mov_b32_e32 v60, v17
	v_mov_b32_e32 v89, v47
	v_pk_mul_f32 v[46:47], v[48:49], v[46:47] op_sel_hi:[1,0]
	v_pk_fma_f32 v[68:69], v[44:45], s[0:1], v[42:43] op_sel_hi:[1,0,1]
	v_pk_fma_f32 v[44:45], v[44:45], s[0:1], v[42:43] op_sel_hi:[1,0,1] neg_lo:[1,0,0] neg_hi:[1,0,0]
	v_pk_add_f32 v[82:83], v[16:17], v[60:61]
	ds_read2_b64 v[60:63], v161 offset0:34 offset1:51
	v_pk_fma_f32 v[86:87], v[48:49], v[30:31], v[46:47] op_sel:[0,0,1] op_sel_hi:[1,1,0] neg_lo:[0,0,1] neg_hi:[0,0,1]
	v_pk_fma_f32 v[46:47], v[48:49], v[30:31], v[46:47] op_sel:[0,0,1] op_sel_hi:[1,0,0]
	v_mov_b32_e32 v43, v45
	v_mov_b32_e32 v87, v47
	v_pk_add_f32 v[46:47], v[50:51], v[56:57]
	v_mov_b32_e32 v45, v54
	v_pk_add_f32 v[40:41], v[46:47], v[40:41]
	v_pk_add_f32 v[46:47], v[52:53], v[16:17]
	v_pk_add_f32 v[48:49], v[52:53], v[44:45]
	v_mov_b32_e32 v83, v84
	v_mov_b32_e32 v47, v49
	v_mov_b32_e32 v48, v17
	v_mov_b32_e32 v49, v64
	v_pk_add_f32 v[46:47], v[46:47], v[48:49]
	v_pk_fma_f32 v[48:49], v[82:83], 0.5, v[52:53] op_sel_hi:[1,0,1] neg_lo:[1,0,0] neg_hi:[1,0,0]
	v_pk_add_f32 v[16:17], v[54:55], v[64:65] neg_lo:[0,1] neg_hi:[0,1]
	v_pk_add_f32 v[54:55], v[88:89], v[86:87] neg_lo:[0,1] neg_hi:[0,1]
	v_pk_fma_f32 v[52:53], v[16:17], s[0:1], v[48:49] op_sel_hi:[1,0,1]
	v_pk_fma_f32 v[50:51], v[16:17], s[0:1], v[48:49] op_sel_hi:[1,0,1] neg_lo:[1,0,0] neg_hi:[1,0,0]
	s_waitcnt lgkmcnt(0)
	v_pk_add_f32 v[16:17], v[60:61], v[88:89]
	v_mov_b32_e32 v48, v52
	v_mov_b32_e32 v49, v51
	;; [unrolled: 1-line block ×3, first 2 shown]
	v_pk_add_f32 v[52:53], v[16:17], v[86:87]
	v_pk_add_f32 v[16:17], v[88:89], v[86:87]
	v_pk_mul_f32 v[54:55], v[54:55], s[0:1] op_sel_hi:[1,0]
	v_pk_fma_f32 v[16:17], v[16:17], 0.5, v[60:61] op_sel_hi:[1,0,1] neg_lo:[1,0,0] neg_hi:[1,0,0]
	s_waitcnt vmcnt(0)
	v_pk_mul_f32 v[60:61], v[58:59], v[32:33] op_sel:[0,1]
	v_pk_add_f32 v[82:83], v[16:17], v[54:55] op_sel:[0,1] op_sel_hi:[1,0]
	v_pk_add_f32 v[56:57], v[16:17], v[54:55] op_sel:[0,1] op_sel_hi:[1,0] neg_lo:[0,1] neg_hi:[0,1]
	ds_read_b64 v[16:17], v161 offset:1904
	v_pk_fma_f32 v[84:85], v[58:59], v[32:33], v[60:61] op_sel:[0,0,1] op_sel_hi:[1,1,0] neg_lo:[0,0,1] neg_hi:[0,0,1]
	v_pk_fma_f32 v[58:59], v[58:59], v[32:33], v[60:61] op_sel:[0,0,1] op_sel_hi:[1,0,0]
	v_pk_add_f32 v[60:61], v[74:75], v[78:79] neg_lo:[0,1] neg_hi:[0,1]
	v_mov_b32_e32 v58, v35
	v_mov_b32_e32 v85, v59
	s_waitcnt lgkmcnt(0)
	v_pk_mul_f32 v[58:59], v[16:17], v[58:59] op_sel_hi:[1,0]
	v_pk_mul_f32 v[60:61], v[60:61], s[0:1] op_sel_hi:[1,0]
	v_pk_fma_f32 v[86:87], v[16:17], v[34:35], v[58:59] op_sel:[0,0,1] op_sel_hi:[1,1,0] neg_lo:[0,0,1] neg_hi:[0,0,1]
	v_pk_fma_f32 v[16:17], v[16:17], v[34:35], v[58:59] op_sel:[0,0,1] op_sel_hi:[1,0,0]
	v_mov_b32_e32 v42, v68
	v_mov_b32_e32 v87, v17
	v_pk_add_f32 v[16:17], v[62:63], v[74:75]
	v_mov_b32_e32 v54, v82
	v_pk_add_f32 v[58:59], v[16:17], v[78:79]
	v_pk_add_f32 v[16:17], v[74:75], v[78:79]
	v_mov_b32_e32 v55, v57
	v_pk_fma_f32 v[16:17], v[16:17], 0.5, v[62:63] op_sel_hi:[1,0,1] neg_lo:[1,0,0] neg_hi:[1,0,0]
	v_mov_b32_e32 v45, v69
	v_pk_add_f32 v[64:65], v[16:17], v[60:61] op_sel:[0,1] op_sel_hi:[1,0]
	v_pk_add_f32 v[62:63], v[16:17], v[60:61] op_sel:[0,1] op_sel_hi:[1,0] neg_lo:[0,1] neg_hi:[0,1]
	v_pk_add_f32 v[16:17], v[66:67], v[84:85]
	v_mov_b32_e32 v60, v64
	v_mov_b32_e32 v61, v63
	;; [unrolled: 1-line block ×3, first 2 shown]
	v_pk_add_f32 v[64:65], v[16:17], v[86:87]
	v_pk_add_f32 v[16:17], v[84:85], v[86:87]
	v_add_u32_e32 v68, v160, v146
	v_pk_fma_f32 v[16:17], v[16:17], 0.5, v[66:67] op_sel_hi:[1,0,1] neg_lo:[1,0,0] neg_hi:[1,0,0]
	v_pk_add_f32 v[66:67], v[84:85], v[86:87] neg_lo:[0,1] neg_hi:[0,1]
	v_mov_b32_e32 v57, v83
	v_pk_mul_f32 v[66:67], v[66:67], s[0:1] op_sel_hi:[1,0]
	ds_write2_b64 v103, v[40:41], v[46:47] offset1:17
	ds_write2_b64 v103, v[42:43], v[48:49] offset0:85 offset1:102
	ds_write2_b64 v103, v[44:45], v[50:51] offset0:170 offset1:187
	ds_write_b64 v103, v[52:53] offset:272
	v_pk_add_f32 v[74:75], v[16:17], v[66:67] op_sel:[0,1] op_sel_hi:[1,0]
	v_pk_add_f32 v[16:17], v[16:17], v[66:67] op_sel:[0,1] op_sel_hi:[1,0] neg_lo:[0,1] neg_hi:[0,1]
	v_mov_b32_e32 v66, v74
	v_mov_b32_e32 v67, v17
	v_mov_b32_e32 v17, v75
	ds_write_b64 v68, v[54:55] offset:952
	ds_write_b64 v68, v[56:57] offset:1632
	;; [unrolled: 1-line block ×8, first 2 shown]
	s_waitcnt lgkmcnt(0)
	; wave barrier
	s_waitcnt lgkmcnt(0)
	s_and_saveexec_b64 s[0:1], vcc
	s_cbranch_execz .LBB0_9
; %bb.8:
	global_load_dwordx2 v[104:105], v160, s[2:3] offset:2040
	s_add_u32 s10, s2, 0x7f8
	s_addc_u32 s11, s3, 0
	global_load_dwordx2 v[108:109], v160, s[10:11] offset:120
	global_load_dwordx2 v[110:111], v160, s[10:11] offset:240
	;; [unrolled: 1-line block ×15, first 2 shown]
	ds_read2_b64 v[74:77], v103 offset1:15
	ds_read2_b64 v[78:81], v103 offset0:30 offset1:45
	global_load_dwordx2 v[138:139], v160, s[10:11] offset:1920
	ds_read2_b64 v[82:85], v103 offset0:60 offset1:75
	ds_read2_b64 v[86:89], v103 offset0:90 offset1:105
	;; [unrolled: 1-line block ×5, first 2 shown]
	s_waitcnt vmcnt(14) lgkmcnt(5)
	v_mul_f32_e32 v70, v79, v111
	s_waitcnt vmcnt(13)
	v_mul_f32_e32 v71, v81, v113
	s_waitcnt vmcnt(12) lgkmcnt(4)
	v_mul_f32_e32 v102, v83, v115
	s_waitcnt vmcnt(11)
	v_mul_f32_e32 v106, v85, v117
	;; [unrolled: 4-line block ×5, first 2 shown]
	v_mul_f32_e32 v69, v75, v105
	v_mul_f32_e32 v141, v74, v105
	v_fma_f32 v140, v74, v104, -v69
	v_fmac_f32_e32 v141, v75, v104
	v_mul_f32_e32 v69, v77, v109
	v_mul_f32_e32 v75, v76, v109
	;; [unrolled: 1-line block ×12, first 2 shown]
	v_fma_f32 v74, v76, v108, -v69
	v_fmac_f32_e32 v75, v77, v108
	v_fma_f32 v104, v78, v110, -v70
	v_fmac_f32_e32 v105, v79, v110
	;; [unrolled: 2-line block ×11, first 2 shown]
	ds_write2_b64 v103, v[140:141], v[74:75] offset1:15
	ds_write2_b64 v103, v[104:105], v[108:109] offset0:30 offset1:45
	ds_write2_b64 v103, v[110:111], v[112:113] offset0:60 offset1:75
	;; [unrolled: 1-line block ×5, first 2 shown]
	ds_read2_b64 v[74:77], v103 offset0:210 offset1:225
	s_waitcnt vmcnt(4) lgkmcnt(7)
	v_mul_f32_e32 v129, v99, v131
	v_mul_f32_e32 v127, v98, v131
	s_waitcnt vmcnt(3)
	v_mul_f32_e32 v131, v101, v133
	v_mul_f32_e32 v79, v100, v133
	v_fma_f32 v126, v98, v130, -v129
	v_fmac_f32_e32 v127, v99, v130
	v_fma_f32 v78, v100, v132, -v131
	v_fmac_f32_e32 v79, v101, v132
	ds_write2_b64 v103, v[126:127], v[78:79] offset0:180 offset1:195
	s_waitcnt vmcnt(2) lgkmcnt(1)
	v_mul_f32_e32 v69, v75, v135
	v_mul_f32_e32 v79, v74, v135
	v_fma_f32 v78, v74, v134, -v69
	v_fmac_f32_e32 v79, v75, v134
	ds_read_b64 v[74:75], v103 offset:1920
	s_waitcnt vmcnt(1)
	v_mul_f32_e32 v69, v77, v137
	v_mul_f32_e32 v81, v76, v137
	v_fma_f32 v80, v76, v136, -v69
	v_fmac_f32_e32 v81, v77, v136
	s_waitcnt vmcnt(0) lgkmcnt(0)
	v_mul_f32_e32 v69, v75, v139
	v_mul_f32_e32 v77, v74, v139
	v_fma_f32 v76, v74, v138, -v69
	v_fmac_f32_e32 v77, v75, v138
	ds_write2_b64 v103, v[78:79], v[80:81] offset0:210 offset1:225
	ds_write_b64 v103, v[76:77] offset:1920
.LBB0_9:
	s_or_b64 exec, exec, s[0:1]
	s_waitcnt lgkmcnt(0)
	; wave barrier
	s_waitcnt lgkmcnt(0)
	s_and_saveexec_b64 s[0:1], vcc
	s_cbranch_execz .LBB0_11
; %bb.10:
	ds_read2_b64 v[40:43], v103 offset1:15
	ds_read2_b64 v[44:47], v103 offset0:30 offset1:45
	ds_read2_b64 v[48:51], v103 offset0:60 offset1:75
	;; [unrolled: 1-line block ×7, first 2 shown]
	ds_read_b64 v[72:73], v103 offset:1920
.LBB0_11:
	s_or_b64 exec, exec, s[0:1]
	v_mov_b32_e32 v92, v4
	v_mov_b32_e32 v93, v4
	;; [unrolled: 1-line block ×42, first 2 shown]
	v_add_u32_e32 v102, 0x110, v68
	v_add_u32_e32 v75, 0x198, v68
	;; [unrolled: 1-line block ×3, first 2 shown]
	s_waitcnt lgkmcnt(0)
	; wave barrier
	s_waitcnt lgkmcnt(0)
	s_and_saveexec_b64 s[0:1], vcc
	s_cbranch_execz .LBB0_13
; %bb.12:
	v_pk_add_f32 v[68:69], v[42:43], v[40:41]
	v_pk_add_f32 v[196:197], v[42:43], v[72:73] neg_lo:[0,1] neg_hi:[0,1]
	v_pk_add_f32 v[68:69], v[44:45], v[68:69]
	s_mov_b32 s26, 0xbeb8f4ab
	v_pk_add_f32 v[68:69], v[46:47], v[68:69]
	v_pk_add_f32 v[194:195], v[72:73], v[42:43]
	;; [unrolled: 1-line block ×3, first 2 shown]
	v_pk_add_f32 v[192:193], v[44:45], v[18:19] neg_lo:[0,1] neg_hi:[0,1]
	v_pk_add_f32 v[68:69], v[50:51], v[68:69]
	v_pk_add_f32 v[186:187], v[16:17], v[46:47]
	;; [unrolled: 1-line block ×3, first 2 shown]
	v_pk_add_f32 v[188:189], v[46:47], v[16:17] neg_lo:[0,1] neg_hi:[0,1]
	v_pk_add_f32 v[68:69], v[54:55], v[68:69]
	s_mov_b32 s16, 0x3f6eb680
	v_pk_add_f32 v[68:69], v[56:57], v[68:69]
	s_mov_b32 s40, 0xbf2c7751
	v_pk_add_f32 v[68:69], v[58:59], v[68:69]
	v_pk_add_f32 v[190:191], v[18:19], v[44:45]
	;; [unrolled: 1-line block ×5, first 2 shown]
	v_pk_add_f32 v[164:165], v[52:53], v[62:63] neg_lo:[0,1] neg_hi:[0,1]
	v_pk_add_f32 v[68:69], v[64:65], v[68:69]
	s_mov_b32 s14, 0x3f3d2fb0
	v_pk_add_f32 v[68:69], v[66:67], v[68:69]
	v_pk_mul_f32 v[42:43], v[192:193], s[40:41] op_sel_hi:[1,0]
	v_pk_add_f32 v[68:69], v[16:17], v[68:69]
	v_pk_mul_f32 v[16:17], v[196:197], s[26:27] op_sel_hi:[1,0]
	v_pk_add_f32 v[68:69], v[18:19], v[68:69]
	v_pk_fma_f32 v[18:19], v[194:195], s[16:17], v[16:17] op_sel:[0,0,1] op_sel_hi:[1,0,0]
	v_pk_fma_f32 v[62:63], v[194:195], s[16:17], v[16:17] op_sel:[0,0,1] op_sel_hi:[1,0,0] neg_lo:[0,0,1] neg_hi:[0,0,1]
	v_pk_add_f32 v[142:143], v[58:59], v[56:57]
	v_accvgpr_write_b32 a0, v148
	v_pk_add_f32 v[148:149], v[56:57], v[58:59] neg_lo:[0,1] neg_hi:[0,1]
	v_mov_b32_e32 v16, v18
	v_accvgpr_write_b32 a3, v19
	v_mov_b32_e32 v17, v63
	v_pk_fma_f32 v[18:19], v[190:191], s[14:15], v[42:43] op_sel:[0,0,1] op_sel_hi:[1,0,0]
	v_pk_fma_f32 v[58:59], v[190:191], s[14:15], v[42:43] op_sel:[0,0,1] op_sel_hi:[1,0,0] neg_lo:[0,0,1] neg_hi:[0,0,1]
	v_pk_add_f32 v[16:17], v[40:41], v[16:17]
	v_mov_b32_e32 v42, v18
	v_mov_b32_e32 v43, v59
	s_mov_b32 s48, 0xbf65296c
	v_pk_add_f32 v[16:17], v[42:43], v[16:17]
	s_mov_b32 s12, 0x3ee437d1
	v_pk_mul_f32 v[42:43], v[188:189], s[48:49] op_sel_hi:[1,0]
	v_pk_add_f32 v[178:179], v[66:67], v[48:49]
	v_pk_add_f32 v[184:185], v[48:49], v[66:67] neg_lo:[0,1] neg_hi:[0,1]
	v_accvgpr_write_b32 a5, v19
	v_pk_fma_f32 v[18:19], v[186:187], s[12:13], v[42:43] op_sel:[0,0,1] op_sel_hi:[1,0,0]
	v_pk_fma_f32 v[48:49], v[186:187], s[12:13], v[42:43] op_sel:[0,0,1] op_sel_hi:[1,0,0] neg_lo:[0,0,1] neg_hi:[0,0,1]
	v_mov_b32_e32 v42, v18
	v_mov_b32_e32 v43, v49
	s_mov_b32 s38, 0xbf7ee86f
	v_pk_add_f32 v[16:17], v[42:43], v[16:17]
	s_mov_b32 s10, 0x3dbcf732
	v_pk_mul_f32 v[42:43], v[184:185], s[38:39] op_sel_hi:[1,0]
	v_accvgpr_write_b32 a7, v19
	v_pk_fma_f32 v[18:19], v[178:179], s[10:11], v[42:43] op_sel:[0,0,1] op_sel_hi:[1,0,0]
	v_pk_fma_f32 v[52:53], v[178:179], s[10:11], v[42:43] op_sel:[0,0,1] op_sel_hi:[1,0,0] neg_lo:[0,0,1] neg_hi:[0,0,1]
	v_pk_add_f32 v[176:177], v[50:51], v[64:65] neg_lo:[0,1] neg_hi:[0,1]
	v_mov_b32_e32 v42, v18
	v_mov_b32_e32 v43, v53
	s_mov_b32 s20, 0xbf763a35
	v_pk_add_f32 v[170:171], v[64:65], v[50:51]
	v_pk_add_f32 v[16:17], v[42:43], v[16:17]
	s_mov_b32 s18, 0xbe8c1d8e
	v_pk_mul_f32 v[42:43], v[176:177], s[20:21] op_sel_hi:[1,0]
	v_accvgpr_write_b32 a9, v19
	v_pk_fma_f32 v[18:19], v[170:171], s[18:19], v[42:43] op_sel:[0,0,1] op_sel_hi:[1,0,0]
	v_pk_fma_f32 v[56:57], v[170:171], s[18:19], v[42:43] op_sel:[0,0,1] op_sel_hi:[1,0,0] neg_lo:[0,0,1] neg_hi:[0,0,1]
	v_mov_b32_e32 v42, v18
	v_mov_b32_e32 v43, v57
	s_mov_b32 s24, 0xbf4c4adb
	v_pk_add_f32 v[16:17], v[42:43], v[16:17]
	s_mov_b32 s22, 0xbf1a4643
	v_pk_mul_f32 v[42:43], v[164:165], s[24:25] op_sel_hi:[1,0]
	v_pk_add_f32 v[154:155], v[60:61], v[54:55]
	v_pk_add_f32 v[156:157], v[54:55], v[60:61] neg_lo:[0,1] neg_hi:[0,1]
	v_accvgpr_write_b32 a11, v19
	v_pk_fma_f32 v[18:19], v[158:159], s[22:23], v[42:43] op_sel:[0,0,1] op_sel_hi:[1,0,0]
	v_pk_fma_f32 v[60:61], v[158:159], s[22:23], v[42:43] op_sel:[0,0,1] op_sel_hi:[1,0,0] neg_lo:[0,0,1] neg_hi:[0,0,1]
	v_mov_b32_e32 v42, v18
	v_mov_b32_e32 v43, v61
	v_pk_add_f32 v[16:17], v[42:43], v[16:17]
	s_mov_b32 s28, 0xbf59a7d5
	v_pk_mul_f32 v[42:43], v[156:157], s[30:31] op_sel_hi:[1,0]
	v_accvgpr_write_b32 a13, v19
	v_pk_fma_f32 v[18:19], v[154:155], s[28:29], v[42:43] op_sel:[0,0,1] op_sel_hi:[1,0,0]
	v_pk_fma_f32 v[64:65], v[154:155], s[28:29], v[42:43] op_sel:[0,0,1] op_sel_hi:[1,0,0] neg_lo:[0,0,1] neg_hi:[0,0,1]
	v_mov_b32_e32 v42, v18
	v_mov_b32_e32 v43, v65
	s_mov_b32 s36, 0xbe3c28d5
	v_pk_add_f32 v[16:17], v[42:43], v[16:17]
	s_mov_b32 s34, 0xbf7ba420
	v_pk_mul_f32 v[42:43], v[148:149], s[36:37] op_sel_hi:[1,0]
	v_pk_add_f32 v[68:69], v[72:73], v[68:69]
	v_accvgpr_write_b32 a15, v19
	v_pk_fma_f32 v[18:19], v[142:143], s[34:35], v[42:43] op_sel:[0,0,1] op_sel_hi:[1,0,0]
	v_pk_fma_f32 v[72:73], v[142:143], s[34:35], v[42:43] op_sel:[0,0,1] op_sel_hi:[1,0,0] neg_lo:[0,0,1] neg_hi:[0,0,1]
	v_mul_lo_u16_e32 v70, 17, v214
	v_mov_b32_e32 v42, v18
	v_mov_b32_e32 v43, v73
	v_accvgpr_write_b32 a1, v102
	v_lshl_add_u32 v102, v70, 3, v146
	v_pk_add_f32 v[16:17], v[42:43], v[16:17]
	ds_write2_b64 v102, v[68:69], v[16:17] offset1:1
	v_pk_mul_f32 v[16:17], v[196:197], s[40:41] op_sel_hi:[1,0]
	v_accvgpr_write_b32 a17, v19
	v_pk_fma_f32 v[18:19], v[194:195], s[14:15], v[16:17] op_sel:[0,0,1] op_sel_hi:[1,0,0]
	v_pk_fma_f32 v[104:105], v[194:195], s[14:15], v[16:17] op_sel:[0,0,1] op_sel_hi:[1,0,0] neg_lo:[0,0,1] neg_hi:[0,0,1]
	v_pk_mul_f32 v[42:43], v[192:193], s[38:39] op_sel_hi:[1,0]
	v_mov_b32_e32 v16, v18
	v_mov_b32_e32 v53, v19
	;; [unrolled: 1-line block ×3, first 2 shown]
	v_pk_fma_f32 v[18:19], v[190:191], s[10:11], v[42:43] op_sel:[0,0,1] op_sel_hi:[1,0,0]
	v_pk_fma_f32 v[108:109], v[190:191], s[10:11], v[42:43] op_sel:[0,0,1] op_sel_hi:[1,0,0] neg_lo:[0,0,1] neg_hi:[0,0,1]
	v_pk_add_f32 v[16:17], v[40:41], v[16:17]
	v_mov_b32_e32 v42, v18
	v_mov_b32_e32 v43, v109
	v_pk_add_f32 v[16:17], v[42:43], v[16:17]
	v_pk_mul_f32 v[42:43], v[188:189], s[24:25] op_sel_hi:[1,0]
	v_mov_b32_e32 v57, v19
	v_pk_fma_f32 v[18:19], v[186:187], s[22:23], v[42:43] op_sel:[0,0,1] op_sel_hi:[1,0,0]
	v_pk_fma_f32 v[112:113], v[186:187], s[22:23], v[42:43] op_sel:[0,0,1] op_sel_hi:[1,0,0] neg_lo:[0,0,1] neg_hi:[0,0,1]
	v_mov_b32_e32 v42, v18
	v_mov_b32_e32 v43, v113
	v_pk_add_f32 v[16:17], v[42:43], v[16:17]
	v_pk_mul_f32 v[42:43], v[184:185], s[36:37] op_sel_hi:[1,0]
	v_mov_b32_e32 v59, v19
	v_pk_fma_f32 v[18:19], v[178:179], s[34:35], v[42:43] op_sel:[0,0,1] op_sel_hi:[1,0,0]
	v_pk_fma_f32 v[116:117], v[178:179], s[34:35], v[42:43] op_sel:[0,0,1] op_sel_hi:[1,0,0] neg_lo:[0,0,1] neg_hi:[0,0,1]
	v_mov_b32_e32 v42, v18
	v_mov_b32_e32 v43, v117
	s_mov_b32 s52, 0x3f06c442
	v_pk_add_f32 v[16:17], v[42:43], v[16:17]
	v_pk_mul_f32 v[42:43], v[176:177], s[52:53] op_sel_hi:[1,0]
	v_mov_b32_e32 v61, v19
	v_pk_fma_f32 v[18:19], v[170:171], s[28:29], v[42:43] op_sel:[0,0,1] op_sel_hi:[1,0,0]
	v_pk_fma_f32 v[120:121], v[170:171], s[28:29], v[42:43] op_sel:[0,0,1] op_sel_hi:[1,0,0] neg_lo:[0,0,1] neg_hi:[0,0,1]
	v_mov_b32_e32 v42, v18
	v_mov_b32_e32 v43, v121
	s_mov_b32 s50, 0x3f763a35
	;; [unrolled: 8-line block ×3, first 2 shown]
	v_pk_add_f32 v[16:17], v[42:43], v[16:17]
	v_pk_mul_f32 v[42:43], v[156:157], s[42:43] op_sel_hi:[1,0]
	v_mov_b32_e32 v65, v19
	v_pk_fma_f32 v[18:19], v[154:155], s[12:13], v[42:43] op_sel:[0,0,1] op_sel_hi:[1,0,0]
	v_pk_fma_f32 v[128:129], v[154:155], s[12:13], v[42:43] op_sel:[0,0,1] op_sel_hi:[1,0,0] neg_lo:[0,0,1] neg_hi:[0,0,1]
	v_mov_b32_e32 v42, v18
	v_mov_b32_e32 v43, v129
	v_pk_add_f32 v[16:17], v[42:43], v[16:17]
	v_pk_mul_f32 v[42:43], v[148:149], s[44:45] op_sel_hi:[1,0]
	v_mov_b32_e32 v73, v19
	v_pk_fma_f32 v[18:19], v[142:143], s[16:17], v[42:43] op_sel:[0,0,1] op_sel_hi:[1,0,0]
	v_pk_fma_f32 v[132:133], v[142:143], s[16:17], v[42:43] op_sel:[0,0,1] op_sel_hi:[1,0,0] neg_lo:[0,0,1] neg_hi:[0,0,1]
	v_mov_b32_e32 v42, v18
	v_mov_b32_e32 v43, v133
	v_pk_add_f32 v[16:17], v[42:43], v[16:17]
	v_pk_mul_f32 v[42:43], v[196:197], s[48:49] op_sel_hi:[1,0]
	v_accvgpr_write_b32 a19, v19
	v_pk_fma_f32 v[18:19], v[194:195], s[12:13], v[42:43] op_sel:[0,0,1] op_sel_hi:[1,0,0]
	v_pk_fma_f32 v[136:137], v[194:195], s[12:13], v[42:43] op_sel:[0,0,1] op_sel_hi:[1,0,0] neg_lo:[0,0,1] neg_hi:[0,0,1]
	v_pk_mul_f32 v[46:47], v[192:193], s[24:25] op_sel_hi:[1,0]
	v_mov_b32_e32 v42, v18
	v_mov_b32_e32 v105, v19
	;; [unrolled: 1-line block ×3, first 2 shown]
	v_pk_fma_f32 v[18:19], v[190:191], s[22:23], v[46:47] op_sel:[0,0,1] op_sel_hi:[1,0,0]
	v_pk_fma_f32 v[140:141], v[190:191], s[22:23], v[46:47] op_sel:[0,0,1] op_sel_hi:[1,0,0] neg_lo:[0,0,1] neg_hi:[0,0,1]
	v_pk_add_f32 v[42:43], v[40:41], v[42:43]
	v_mov_b32_e32 v46, v18
	v_mov_b32_e32 v47, v141
	s_mov_b32 s46, 0x3e3c28d5
	v_pk_add_f32 v[42:43], v[46:47], v[42:43]
	v_pk_mul_f32 v[46:47], v[188:189], s[46:47] op_sel_hi:[1,0]
	v_mov_b32_e32 v109, v19
	v_pk_fma_f32 v[18:19], v[186:187], s[34:35], v[46:47] op_sel:[0,0,1] op_sel_hi:[1,0,0]
	v_pk_fma_f32 v[146:147], v[186:187], s[34:35], v[46:47] op_sel:[0,0,1] op_sel_hi:[1,0,0] neg_lo:[0,0,1] neg_hi:[0,0,1]
	v_pk_mul_f32 v[68:69], v[184:185], s[50:51] op_sel_hi:[1,0]
	s_mov_b32 s46, 0x3f2c7751
	v_mov_b32_e32 v46, v18
	v_mov_b32_e32 v113, v19
	;; [unrolled: 1-line block ×3, first 2 shown]
	v_pk_fma_f32 v[18:19], v[178:179], s[18:19], v[68:69] op_sel:[0,0,1] op_sel_hi:[1,0,0]
	v_pk_fma_f32 v[152:153], v[178:179], s[18:19], v[68:69] op_sel:[0,0,1] op_sel_hi:[1,0,0] neg_lo:[0,0,1] neg_hi:[0,0,1]
	v_pk_mul_f32 v[150:151], v[176:177], s[46:47] op_sel_hi:[1,0]
	v_pk_add_f32 v[42:43], v[46:47], v[42:43]
	v_mov_b32_e32 v68, v18
	v_mov_b32_e32 v117, v19
	;; [unrolled: 1-line block ×3, first 2 shown]
	v_pk_fma_f32 v[18:19], v[170:171], s[14:15], v[150:151] op_sel:[0,0,1] op_sel_hi:[1,0,0]
	v_pk_fma_f32 v[162:163], v[170:171], s[14:15], v[150:151] op_sel:[0,0,1] op_sel_hi:[1,0,0] neg_lo:[0,0,1] neg_hi:[0,0,1]
	v_pk_add_f32 v[68:69], v[68:69], v[42:43]
	v_mov_b32_e32 v150, v18
	v_mov_b32_e32 v151, v163
	v_pk_add_f32 v[68:69], v[150:151], v[68:69]
	v_pk_mul_f32 v[150:151], v[164:165], s[26:27] op_sel_hi:[1,0]
	v_mov_b32_e32 v121, v19
	v_pk_fma_f32 v[18:19], v[158:159], s[16:17], v[150:151] op_sel:[0,0,1] op_sel_hi:[1,0,0]
	v_pk_fma_f32 v[168:169], v[158:159], s[16:17], v[150:151] op_sel:[0,0,1] op_sel_hi:[1,0,0] neg_lo:[0,0,1] neg_hi:[0,0,1]
	v_mov_b32_e32 v150, v18
	v_mov_b32_e32 v151, v169
	v_pk_add_f32 v[68:69], v[150:151], v[68:69]
	v_pk_mul_f32 v[150:151], v[156:157], s[38:39] op_sel_hi:[1,0]
	v_mov_b32_e32 v125, v19
	v_pk_fma_f32 v[18:19], v[154:155], s[10:11], v[150:151] op_sel:[0,0,1] op_sel_hi:[1,0,0]
	v_pk_fma_f32 v[174:175], v[154:155], s[10:11], v[150:151] op_sel:[0,0,1] op_sel_hi:[1,0,0] neg_lo:[0,0,1] neg_hi:[0,0,1]
	v_mov_b32_e32 v150, v18
	v_mov_b32_e32 v151, v175
	v_pk_add_f32 v[68:69], v[150:151], v[68:69]
	v_pk_mul_f32 v[150:151], v[148:149], s[30:31] op_sel_hi:[1,0]
	v_mov_b32_e32 v129, v19
	v_pk_fma_f32 v[18:19], v[142:143], s[28:29], v[150:151] op_sel:[0,0,1] op_sel_hi:[1,0,0]
	v_pk_fma_f32 v[182:183], v[142:143], s[28:29], v[150:151] op_sel:[0,0,1] op_sel_hi:[1,0,0] neg_lo:[0,0,1] neg_hi:[0,0,1]
	v_mov_b32_e32 v150, v18
	v_mov_b32_e32 v151, v183
	v_pk_add_f32 v[68:69], v[150:151], v[68:69]
	ds_write2_b64 v102, v[16:17], v[68:69] offset0:2 offset1:3
	v_pk_mul_f32 v[16:17], v[196:197], s[38:39] op_sel_hi:[1,0]
	v_mov_b32_e32 v133, v19
	v_pk_fma_f32 v[18:19], v[194:195], s[10:11], v[16:17] op_sel:[0,0,1] op_sel_hi:[1,0,0]
	v_pk_fma_f32 v[200:201], v[194:195], s[10:11], v[16:17] op_sel:[0,0,1] op_sel_hi:[1,0,0] neg_lo:[0,0,1] neg_hi:[0,0,1]
	v_pk_mul_f32 v[68:69], v[192:193], s[36:37] op_sel_hi:[1,0]
	v_mov_b32_e32 v16, v18
	v_mov_b32_e32 v137, v19
	;; [unrolled: 1-line block ×3, first 2 shown]
	v_pk_fma_f32 v[18:19], v[190:191], s[34:35], v[68:69] op_sel:[0,0,1] op_sel_hi:[1,0,0]
	v_pk_fma_f32 v[204:205], v[190:191], s[34:35], v[68:69] op_sel:[0,0,1] op_sel_hi:[1,0,0] neg_lo:[0,0,1] neg_hi:[0,0,1]
	v_pk_add_f32 v[16:17], v[40:41], v[16:17]
	v_mov_b32_e32 v68, v18
	v_mov_b32_e32 v69, v205
	v_pk_add_f32 v[16:17], v[68:69], v[16:17]
	v_pk_mul_f32 v[68:69], v[188:189], s[50:51] op_sel_hi:[1,0]
	v_mov_b32_e32 v141, v19
	v_pk_fma_f32 v[18:19], v[186:187], s[18:19], v[68:69] op_sel:[0,0,1] op_sel_hi:[1,0,0]
	v_pk_fma_f32 v[208:209], v[186:187], s[18:19], v[68:69] op_sel:[0,0,1] op_sel_hi:[1,0,0] neg_lo:[0,0,1] neg_hi:[0,0,1]
	v_mov_b32_e32 v68, v18
	v_mov_b32_e32 v69, v209
	v_pk_add_f32 v[16:17], v[68:69], v[16:17]
	v_pk_mul_f32 v[68:69], v[184:185], s[44:45] op_sel_hi:[1,0]
	v_mov_b32_e32 v147, v19
	v_pk_fma_f32 v[18:19], v[178:179], s[16:17], v[68:69] op_sel:[0,0,1] op_sel_hi:[1,0,0]
	v_pk_fma_f32 v[212:213], v[178:179], s[16:17], v[68:69] op_sel:[0,0,1] op_sel_hi:[1,0,0] neg_lo:[0,0,1] neg_hi:[0,0,1]
	v_mov_b32_e32 v68, v18
	v_mov_b32_e32 v69, v213
	v_pk_add_f32 v[16:17], v[68:69], v[16:17]
	v_pk_mul_f32 v[68:69], v[176:177], s[48:49] op_sel_hi:[1,0]
	v_mov_b32_e32 v153, v19
	v_pk_fma_f32 v[18:19], v[170:171], s[12:13], v[68:69] op_sel:[0,0,1] op_sel_hi:[1,0,0]
	v_mov_b32_e32 v49, v216
	v_pk_fma_f32 v[216:217], v[170:171], s[12:13], v[68:69] op_sel:[0,0,1] op_sel_hi:[1,0,0] neg_lo:[0,0,1] neg_hi:[0,0,1]
	v_mov_b32_e32 v68, v18
	v_mov_b32_e32 v69, v217
	v_pk_add_f32 v[16:17], v[68:69], v[16:17]
	v_pk_mul_f32 v[68:69], v[164:165], s[30:31] op_sel_hi:[1,0]
	v_mov_b32_e32 v163, v19
	v_pk_fma_f32 v[18:19], v[158:159], s[28:29], v[68:69] op_sel:[0,0,1] op_sel_hi:[1,0,0]
	v_pk_fma_f32 v[220:221], v[158:159], s[28:29], v[68:69] op_sel:[0,0,1] op_sel_hi:[1,0,0] neg_lo:[0,0,1] neg_hi:[0,0,1]
	v_mov_b32_e32 v68, v18
	v_mov_b32_e32 v69, v221
	s_mov_b32 s54, 0x3f4c4adb
	v_pk_add_f32 v[16:17], v[68:69], v[16:17]
	v_pk_mul_f32 v[68:69], v[156:157], s[54:55] op_sel_hi:[1,0]
	v_mov_b32_e32 v169, v19
	v_pk_fma_f32 v[18:19], v[154:155], s[22:23], v[68:69] op_sel:[0,0,1] op_sel_hi:[1,0,0]
	v_pk_fma_f32 v[224:225], v[154:155], s[22:23], v[68:69] op_sel:[0,0,1] op_sel_hi:[1,0,0] neg_lo:[0,0,1] neg_hi:[0,0,1]
	v_mov_b32_e32 v68, v18
	v_mov_b32_e32 v69, v225
	v_pk_add_f32 v[16:17], v[68:69], v[16:17]
	v_pk_mul_f32 v[68:69], v[148:149], s[46:47] op_sel_hi:[1,0]
	v_mov_b32_e32 v175, v19
	v_pk_fma_f32 v[18:19], v[142:143], s[14:15], v[68:69] op_sel:[0,0,1] op_sel_hi:[1,0,0]
	v_pk_fma_f32 v[228:229], v[142:143], s[14:15], v[68:69] op_sel:[0,0,1] op_sel_hi:[1,0,0] neg_lo:[0,0,1] neg_hi:[0,0,1]
	v_mov_b32_e32 v68, v18
	v_mov_b32_e32 v69, v229
	v_pk_add_f32 v[106:107], v[68:69], v[16:17]
	v_pk_mul_f32 v[16:17], v[196:197], s[20:21] op_sel_hi:[1,0]
	v_mov_b32_e32 v183, v19
	v_pk_fma_f32 v[18:19], v[194:195], s[18:19], v[16:17] op_sel:[0,0,1] op_sel_hi:[1,0,0]
	v_pk_fma_f32 v[230:231], v[194:195], s[18:19], v[16:17] op_sel:[0,0,1] op_sel_hi:[1,0,0] neg_lo:[0,0,1] neg_hi:[0,0,1]
	v_pk_mul_f32 v[68:69], v[192:193], s[52:53] op_sel_hi:[1,0]
	v_mov_b32_e32 v16, v18
	v_mov_b32_e32 v201, v19
	;; [unrolled: 1-line block ×3, first 2 shown]
	v_pk_fma_f32 v[18:19], v[190:191], s[28:29], v[68:69] op_sel:[0,0,1] op_sel_hi:[1,0,0]
	v_pk_fma_f32 v[234:235], v[190:191], s[28:29], v[68:69] op_sel:[0,0,1] op_sel_hi:[1,0,0] neg_lo:[0,0,1] neg_hi:[0,0,1]
	v_pk_add_f32 v[16:17], v[40:41], v[16:17]
	v_mov_b32_e32 v68, v18
	v_mov_b32_e32 v69, v235
	v_pk_add_f32 v[16:17], v[68:69], v[16:17]
	v_pk_mul_f32 v[68:69], v[188:189], s[46:47] op_sel_hi:[1,0]
	v_mov_b32_e32 v205, v19
	v_pk_fma_f32 v[18:19], v[186:187], s[14:15], v[68:69] op_sel:[0,0,1] op_sel_hi:[1,0,0]
	v_pk_fma_f32 v[240:241], v[186:187], s[14:15], v[68:69] op_sel:[0,0,1] op_sel_hi:[1,0,0] neg_lo:[0,0,1] neg_hi:[0,0,1]
	v_mov_b32_e32 v68, v18
	v_mov_b32_e32 v69, v241
	v_pk_add_f32 v[16:17], v[68:69], v[16:17]
	v_pk_mul_f32 v[68:69], v[184:185], s[48:49] op_sel_hi:[1,0]
	v_mov_b32_e32 v209, v19
	v_pk_fma_f32 v[18:19], v[178:179], s[12:13], v[68:69] op_sel:[0,0,1] op_sel_hi:[1,0,0]
	v_pk_fma_f32 v[244:245], v[178:179], s[12:13], v[68:69] op_sel:[0,0,1] op_sel_hi:[1,0,0] neg_lo:[0,0,1] neg_hi:[0,0,1]
	;; [unrolled: 7-line block ×3, first 2 shown]
	v_mov_b32_e32 v68, v18
	v_mov_b32_e32 v69, v249
	s_mov_b32 s48, 0x3f7ee86f
	v_pk_add_f32 v[16:17], v[68:69], v[16:17]
	v_pk_mul_f32 v[68:69], v[164:165], s[48:49] op_sel_hi:[1,0]
	v_mov_b32_e32 v217, v19
	v_pk_fma_f32 v[18:19], v[158:159], s[10:11], v[68:69] op_sel:[0,0,1] op_sel_hi:[1,0,0]
	v_pk_fma_f32 v[252:253], v[158:159], s[10:11], v[68:69] op_sel:[0,0,1] op_sel_hi:[1,0,0] neg_lo:[0,0,1] neg_hi:[0,0,1]
	v_pk_mul_f32 v[150:151], v[156:157], s[26:27] op_sel_hi:[1,0]
	v_mov_b32_e32 v68, v18
	v_mov_b32_e32 v69, v253
	v_pk_fma_f32 v[130:131], v[154:155], s[16:17], v[150:151] op_sel:[0,0,1] op_sel_hi:[1,0,0]
	v_pk_fma_f32 v[254:255], v[154:155], s[16:17], v[150:151] op_sel:[0,0,1] op_sel_hi:[1,0,0] neg_lo:[0,0,1] neg_hi:[0,0,1]
	v_pk_add_f32 v[68:69], v[68:69], v[16:17]
	v_mov_b32_e32 v150, v130
	v_mov_b32_e32 v151, v255
	v_pk_add_f32 v[144:145], v[150:151], v[68:69]
	v_pk_mul_f32 v[68:69], v[148:149], s[24:25] op_sel_hi:[1,0]
	v_pk_mul_f32 v[172:173], v[192:193], s[50:51] op_sel_hi:[1,0]
	v_pk_fma_f32 v[166:167], v[142:143], s[22:23], v[68:69] op_sel:[0,0,1] op_sel_hi:[1,0,0]
	v_pk_fma_f32 v[68:69], v[142:143], s[22:23], v[68:69] op_sel:[0,0,1] op_sel_hi:[1,0,0] neg_lo:[0,0,1] neg_hi:[0,0,1]
	v_mov_b32_e32 v150, v166
	v_mov_b32_e32 v151, v69
	v_pk_add_f32 v[144:145], v[150:151], v[144:145]
	ds_write2_b64 v102, v[106:107], v[144:145] offset0:4 offset1:5
	v_pk_mul_f32 v[106:107], v[196:197], s[24:25] op_sel_hi:[1,0]
	v_pk_fma_f32 v[126:127], v[190:191], s[18:19], v[172:173] op_sel:[0,0,1] op_sel_hi:[1,0,0]
	v_pk_fma_f32 v[144:145], v[194:195], s[22:23], v[106:107] op_sel:[0,0,1] op_sel_hi:[1,0,0]
	v_pk_fma_f32 v[106:107], v[194:195], s[22:23], v[106:107] op_sel:[0,0,1] op_sel_hi:[1,0,0] neg_lo:[0,0,1] neg_hi:[0,0,1]
	v_mov_b32_e32 v150, v144
	v_mov_b32_e32 v151, v107
	v_pk_fma_f32 v[172:173], v[190:191], s[18:19], v[172:173] op_sel:[0,0,1] op_sel_hi:[1,0,0] neg_lo:[0,0,1] neg_hi:[0,0,1]
	v_pk_add_f32 v[150:151], v[40:41], v[150:151]
	v_mov_b32_e32 v180, v126
	v_mov_b32_e32 v181, v173
	v_pk_add_f32 v[150:151], v[180:181], v[150:151]
	v_pk_mul_f32 v[180:181], v[188:189], s[26:27] op_sel_hi:[1,0]
	v_pk_mul_f32 v[226:227], v[192:193], s[42:43] op_sel_hi:[1,0]
	v_pk_fma_f32 v[122:123], v[186:187], s[16:17], v[180:181] op_sel:[0,0,1] op_sel_hi:[1,0,0]
	v_pk_fma_f32 v[180:181], v[186:187], s[16:17], v[180:181] op_sel:[0,0,1] op_sel_hi:[1,0,0] neg_lo:[0,0,1] neg_hi:[0,0,1]
	v_mov_b32_e32 v16, v122
	v_mov_b32_e32 v17, v181
	v_pk_add_f32 v[16:17], v[16:17], v[150:151]
	v_pk_mul_f32 v[150:151], v[184:185], s[30:31] op_sel_hi:[1,0]
	v_pk_fma_f32 v[236:237], v[190:191], s[12:13], v[226:227] op_sel:[0,0,1] op_sel_hi:[1,0,0]
	v_pk_fma_f32 v[118:119], v[178:179], s[28:29], v[150:151] op_sel:[0,0,1] op_sel_hi:[1,0,0]
	v_pk_fma_f32 v[150:151], v[178:179], s[28:29], v[150:151] op_sel:[0,0,1] op_sel_hi:[1,0,0] neg_lo:[0,0,1] neg_hi:[0,0,1]
	v_mov_b32_e32 v42, v118
	v_mov_b32_e32 v43, v151
	v_pk_add_f32 v[16:17], v[42:43], v[16:17]
	v_pk_mul_f32 v[42:43], v[176:177], s[48:49] op_sel_hi:[1,0]
	v_pk_fma_f32 v[226:227], v[190:191], s[12:13], v[226:227] op_sel:[0,0,1] op_sel_hi:[1,0,0] neg_lo:[0,0,1] neg_hi:[0,0,1]
	v_pk_fma_f32 v[114:115], v[170:171], s[10:11], v[42:43] op_sel:[0,0,1] op_sel_hi:[1,0,0]
	v_pk_fma_f32 v[42:43], v[170:171], s[10:11], v[42:43] op_sel:[0,0,1] op_sel_hi:[1,0,0] neg_lo:[0,0,1] neg_hi:[0,0,1]
	v_mov_b32_e32 v46, v114
	v_mov_b32_e32 v47, v43
	v_pk_add_f32 v[16:17], v[46:47], v[16:17]
	v_pk_mul_f32 v[46:47], v[164:165], s[40:41] op_sel_hi:[1,0]
	v_mov_b32_e32 v232, v236
	v_pk_fma_f32 v[110:111], v[158:159], s[14:15], v[46:47] op_sel:[0,0,1] op_sel_hi:[1,0,0]
	v_pk_fma_f32 v[46:47], v[158:159], s[14:15], v[46:47] op_sel:[0,0,1] op_sel_hi:[1,0,0] neg_lo:[0,0,1] neg_hi:[0,0,1]
	v_mov_b32_e32 v50, v110
	v_mov_b32_e32 v51, v47
	v_pk_add_f32 v[16:17], v[50:51], v[16:17]
	v_pk_mul_f32 v[50:51], v[156:157], s[36:37] op_sel_hi:[1,0]
	v_mov_b32_e32 v110, v218
	;; [unrolled: 7-line block ×4, first 2 shown]
	v_pk_fma_f32 v[222:223], v[194:195], s[28:29], v[70:71] op_sel:[0,0,1] op_sel_hi:[1,0,0]
	v_pk_fma_f32 v[70:71], v[194:195], s[28:29], v[70:71] op_sel:[0,0,1] op_sel_hi:[1,0,0] neg_lo:[0,0,1] neg_hi:[0,0,1]
	v_mov_b32_e32 v218, v222
	v_mov_b32_e32 v219, v71
	v_pk_add_f32 v[218:219], v[40:41], v[218:219]
	v_mov_b32_e32 v221, v19
	v_pk_add_f32 v[218:219], v[232:233], v[218:219]
	v_pk_mul_f32 v[232:233], v[188:189], s[38:39] op_sel_hi:[1,0]
	v_mov_b32_e32 v43, v74
	v_pk_fma_f32 v[242:243], v[186:187], s[10:11], v[232:233] op_sel:[0,0,1] op_sel_hi:[1,0,0]
	v_pk_fma_f32 v[232:233], v[186:187], s[10:11], v[232:233] op_sel:[0,0,1] op_sel_hi:[1,0,0] neg_lo:[0,0,1] neg_hi:[0,0,1]
	v_mov_b32_e32 v238, v242
	v_mov_b32_e32 v239, v233
	v_pk_add_f32 v[218:219], v[238:239], v[218:219]
	v_pk_mul_f32 v[238:239], v[184:185], s[54:55] op_sel_hi:[1,0]
	v_pk_mul_f32 v[192:193], v[192:193], s[44:45] op_sel_hi:[1,0]
	v_pk_fma_f32 v[250:251], v[178:179], s[22:23], v[238:239] op_sel:[0,0,1] op_sel_hi:[1,0,0]
	v_pk_fma_f32 v[238:239], v[178:179], s[22:23], v[238:239] op_sel:[0,0,1] op_sel_hi:[1,0,0] neg_lo:[0,0,1] neg_hi:[0,0,1]
	v_mov_b32_e32 v246, v250
	v_mov_b32_e32 v247, v239
	v_pk_add_f32 v[218:219], v[246:247], v[218:219]
	v_pk_mul_f32 v[246:247], v[176:177], s[26:27] op_sel_hi:[1,0]
	v_pk_mul_f32 v[188:189], v[188:189], s[30:31] op_sel_hi:[1,0]
	v_pk_fma_f32 v[44:45], v[170:171], s[16:17], v[246:247] op_sel:[0,0,1] op_sel_hi:[1,0,0]
	v_pk_fma_f32 v[246:247], v[170:171], s[16:17], v[246:247] op_sel:[0,0,1] op_sel_hi:[1,0,0] neg_lo:[0,0,1] neg_hi:[0,0,1]
	v_mov_b32_e32 v18, v44
	v_mov_b32_e32 v19, v247
	v_pk_add_f32 v[18:19], v[18:19], v[218:219]
	v_pk_mul_f32 v[218:219], v[164:165], s[36:37] op_sel_hi:[1,0]
	v_mov_b32_e32 v44, v75
	v_pk_fma_f32 v[210:211], v[158:159], s[34:35], v[218:219] op_sel:[0,0,1] op_sel_hi:[1,0,0]
	v_pk_fma_f32 v[218:219], v[158:159], s[34:35], v[218:219] op_sel:[0,0,1] op_sel_hi:[1,0,0] neg_lo:[0,0,1] neg_hi:[0,0,1]
	v_mov_b32_e32 v74, v210
	v_mov_b32_e32 v75, v219
	v_pk_add_f32 v[18:19], v[74:75], v[18:19]
	v_pk_mul_f32 v[74:75], v[156:157], s[46:47] op_sel_hi:[1,0]
	v_pk_mul_f32 v[184:185], v[184:185], s[46:47] op_sel_hi:[1,0]
	v_pk_fma_f32 v[202:203], v[154:155], s[14:15], v[74:75] op_sel:[0,0,1] op_sel_hi:[1,0,0]
	v_pk_fma_f32 v[74:75], v[154:155], s[14:15], v[74:75] op_sel:[0,0,1] op_sel_hi:[1,0,0] neg_lo:[0,0,1] neg_hi:[0,0,1]
	v_mov_b32_e32 v206, v202
	v_mov_b32_e32 v207, v75
	v_pk_add_f32 v[18:19], v[206:207], v[18:19]
	v_pk_mul_f32 v[206:207], v[148:149], s[20:21] op_sel_hi:[1,0]
	v_pk_mul_f32 v[176:177], v[176:177], s[24:25] op_sel_hi:[1,0]
	v_pk_fma_f32 v[138:139], v[142:143], s[18:19], v[206:207] op_sel:[0,0,1] op_sel_hi:[1,0,0]
	v_pk_fma_f32 v[206:207], v[142:143], s[18:19], v[206:207] op_sel:[0,0,1] op_sel_hi:[1,0,0] neg_lo:[0,0,1] neg_hi:[0,0,1]
	v_mov_b32_e32 v198, v138
	v_mov_b32_e32 v199, v207
	v_pk_add_f32 v[18:19], v[198:199], v[18:19]
	ds_write2_b64 v102, v[16:17], v[18:19] offset0:6 offset1:7
	v_pk_mul_f32 v[16:17], v[196:197], s[36:37] op_sel_hi:[1,0]
	v_pk_mul_f32 v[164:165], v[164:165], s[42:43] op_sel_hi:[1,0]
	v_pk_fma_f32 v[18:19], v[194:195], s[34:35], v[16:17] op_sel:[0,0,1] op_sel_hi:[1,0,0]
	v_pk_fma_f32 v[16:17], v[194:195], s[34:35], v[16:17] op_sel:[0,0,1] op_sel_hi:[1,0,0] neg_lo:[0,0,1] neg_hi:[0,0,1]
	v_pk_fma_f32 v[194:195], v[190:191], s[16:17], v[192:193] op_sel:[0,0,1] op_sel_hi:[1,0,0]
	v_pk_fma_f32 v[190:191], v[190:191], s[16:17], v[192:193] op_sel:[0,0,1] op_sel_hi:[1,0,0] neg_lo:[0,0,1] neg_hi:[0,0,1]
	v_mov_b32_e32 v192, v18
	v_mov_b32_e32 v193, v17
	v_pk_add_f32 v[192:193], v[40:41], v[192:193]
	v_mov_b32_e32 v196, v194
	v_mov_b32_e32 v197, v191
	v_pk_add_f32 v[192:193], v[196:197], v[192:193]
	v_pk_fma_f32 v[196:197], v[186:187], s[28:29], v[188:189] op_sel:[0,0,1] op_sel_hi:[1,0,0]
	v_pk_fma_f32 v[186:187], v[186:187], s[28:29], v[188:189] op_sel:[0,0,1] op_sel_hi:[1,0,0] neg_lo:[0,0,1] neg_hi:[0,0,1]
	v_mov_b32_e32 v188, v196
	v_mov_b32_e32 v189, v187
	v_pk_add_f32 v[188:189], v[188:189], v[192:193]
	v_pk_fma_f32 v[192:193], v[178:179], s[14:15], v[184:185] op_sel:[0,0,1] op_sel_hi:[1,0,0]
	v_pk_fma_f32 v[178:179], v[178:179], s[14:15], v[184:185] op_sel:[0,0,1] op_sel_hi:[1,0,0] neg_lo:[0,0,1] neg_hi:[0,0,1]
	;; [unrolled: 5-line block ×3, first 2 shown]
	v_mov_b32_e32 v17, v19
	v_mov_b32_e32 v176, v188
	;; [unrolled: 1-line block ×4, first 2 shown]
	v_pk_add_f32 v[16:17], v[40:41], v[16:17]
	v_pk_add_f32 v[176:177], v[176:177], v[184:185]
	v_pk_fma_f32 v[184:185], v[158:159], s[12:13], v[164:165] op_sel:[0,0,1] op_sel_hi:[1,0,0]
	v_pk_fma_f32 v[158:159], v[158:159], s[12:13], v[164:165] op_sel:[0,0,1] op_sel_hi:[1,0,0] neg_lo:[0,0,1] neg_hi:[0,0,1]
	v_pk_add_f32 v[16:17], v[190:191], v[16:17]
	v_mov_b32_e32 v187, v197
	v_mov_b32_e32 v164, v184
	;; [unrolled: 1-line block ×3, first 2 shown]
	v_pk_mul_f32 v[156:157], v[156:157], s[20:21] op_sel_hi:[1,0]
	v_pk_add_f32 v[16:17], v[186:187], v[16:17]
	v_mov_b32_e32 v179, v193
	v_pk_add_f32 v[164:165], v[164:165], v[176:177]
	v_pk_fma_f32 v[176:177], v[154:155], s[18:19], v[156:157] op_sel:[0,0,1] op_sel_hi:[1,0,0]
	v_pk_fma_f32 v[154:155], v[154:155], s[18:19], v[156:157] op_sel:[0,0,1] op_sel_hi:[1,0,0] neg_lo:[0,0,1] neg_hi:[0,0,1]
	v_pk_add_f32 v[16:17], v[178:179], v[16:17]
	v_mov_b32_e32 v171, v189
	v_mov_b32_e32 v156, v176
	;; [unrolled: 1-line block ×3, first 2 shown]
	v_pk_mul_f32 v[148:149], v[148:149], s[48:49] op_sel_hi:[1,0]
	v_pk_add_f32 v[16:17], v[170:171], v[16:17]
	v_mov_b32_e32 v159, v185
	v_pk_add_f32 v[156:157], v[156:157], v[164:165]
	v_pk_fma_f32 v[164:165], v[142:143], s[10:11], v[148:149] op_sel:[0,0,1] op_sel_hi:[1,0,0]
	v_pk_fma_f32 v[142:143], v[142:143], s[10:11], v[148:149] op_sel:[0,0,1] op_sel_hi:[1,0,0] neg_lo:[0,0,1] neg_hi:[0,0,1]
	v_pk_add_f32 v[16:17], v[158:159], v[16:17]
	v_mov_b32_e32 v155, v177
	v_mov_b32_e32 v148, v164
	;; [unrolled: 1-line block ×3, first 2 shown]
	v_pk_add_f32 v[16:17], v[154:155], v[16:17]
	v_mov_b32_e32 v143, v165
	v_pk_add_f32 v[148:149], v[148:149], v[156:157]
	v_pk_add_f32 v[16:17], v[142:143], v[16:17]
	v_mov_b32_e32 v71, v223
	ds_write2_b64 v102, v[148:149], v[16:17] offset0:8 offset1:9
	v_mov_b32_e32 v227, v237
	v_pk_add_f32 v[16:17], v[40:41], v[70:71]
	v_mov_b32_e32 v233, v243
	v_pk_add_f32 v[16:17], v[226:227], v[16:17]
	;; [unrolled: 2-line block ×4, first 2 shown]
	v_mov_b32_e32 v247, v45
	v_mov_b32_e32 v173, v127
	v_pk_add_f32 v[18:19], v[40:41], v[106:107]
	v_pk_add_f32 v[16:17], v[246:247], v[16:17]
	v_mov_b32_e32 v219, v211
	v_pk_add_f32 v[18:19], v[172:173], v[18:19]
	v_mov_b32_e32 v181, v123
	;; [unrolled: 2-line block ×8, first 2 shown]
	v_mov_b32_e32 v207, v139
	v_pk_add_f32 v[18:19], v[50:51], v[18:19]
	v_mov_b32_e32 v55, v215
	v_pk_add_f32 v[16:17], v[206:207], v[16:17]
	v_pk_add_f32 v[18:19], v[54:55], v[18:19]
	v_mov_b32_e32 v231, v201
	v_mov_b32_e32 v201, v137
	ds_write2_b64 v102, v[16:17], v[18:19] offset0:10 offset1:11
	v_mov_b32_e32 v235, v205
	v_pk_add_f32 v[16:17], v[40:41], v[230:231]
	v_pk_add_f32 v[18:19], v[40:41], v[200:201]
	v_mov_b32_e32 v205, v141
	v_pk_add_f32 v[16:17], v[234:235], v[16:17]
	v_mov_b32_e32 v241, v209
	;; [unrolled: 2-line block ×13, first 2 shown]
	v_pk_add_f32 v[16:17], v[68:69], v[16:17]
	v_pk_add_f32 v[18:19], v[228:229], v[18:19]
	v_mov_b32_e32 v137, v105
	v_mov_b32_e32 v105, v53
	ds_write2_b64 v102, v[16:17], v[18:19] offset0:12 offset1:13
	v_pk_add_f32 v[16:17], v[40:41], v[136:137]
	v_mov_b32_e32 v141, v109
	v_pk_add_f32 v[18:19], v[40:41], v[104:105]
	v_mov_b32_e32 v109, v57
	;; [unrolled: 2-line block ×13, first 2 shown]
	v_pk_add_f32 v[18:19], v[128:129], v[18:19]
	v_accvgpr_read_b32 v133, a19
	v_pk_add_f32 v[16:17], v[182:183], v[16:17]
	v_pk_add_f32 v[18:19], v[132:133], v[18:19]
	v_accvgpr_read_b32 v63, a3
	ds_write2_b64 v102, v[16:17], v[18:19] offset0:14 offset1:15
	v_pk_add_f32 v[16:17], v[40:41], v[62:63]
	v_accvgpr_read_b32 v59, a5
	v_mov_b32_e32 v216, v49
	v_pk_add_f32 v[16:17], v[58:59], v[16:17]
	v_accvgpr_read_b32 v49, a7
	v_pk_add_f32 v[16:17], v[48:49], v[16:17]
	v_accvgpr_read_b32 v53, a9
	;; [unrolled: 2-line block ×7, first 2 shown]
	v_mov_b32_e32 v218, v110
	v_mov_b32_e32 v75, v44
	;; [unrolled: 1-line block ×3, first 2 shown]
	ds_write_b64 v102, v[16:17] offset:128
	v_accvgpr_read_b32 v102, a1
.LBB0_13:
	s_or_b64 exec, exec, s[0:1]
	s_waitcnt lgkmcnt(0)
	; wave barrier
	s_waitcnt lgkmcnt(0)
	ds_read2_b64 v[16:19], v161 offset0:34 offset1:51
	ds_read2_b64 v[40:43], v161 offset1:17
	ds_read2_b64 v[44:47], v161 offset0:102 offset1:119
	ds_read2_b64 v[48:51], v161 offset0:136 offset1:153
	;; [unrolled: 1-line block ×3, first 2 shown]
	s_waitcnt lgkmcnt(4)
	v_pk_mul_f32 v[56:57], v[4:5], v[18:19]
	s_mov_b32 s0, 0x3f737871
	v_pk_fma_f32 v[58:59], v[92:93], v[18:19], v[56:57] op_sel:[0,0,1] op_sel_hi:[1,1,0]
	v_pk_fma_f32 v[18:19], v[92:93], v[18:19], v[56:57] op_sel:[0,0,1] op_sel_hi:[1,1,0] neg_lo:[0,0,1] neg_hi:[0,0,1]
	s_mov_b32 s10, 0x3f167918
	v_mov_b32_e32 v59, v19
	s_waitcnt lgkmcnt(2)
	v_pk_mul_f32 v[18:19], v[6:7], v[44:45]
	s_mov_b32 s12, 0x3e9e377a
	v_pk_fma_f32 v[56:57], v[90:91], v[44:45], v[18:19] op_sel:[0,0,1] op_sel_hi:[1,1,0]
	v_pk_fma_f32 v[18:19], v[90:91], v[44:45], v[18:19] op_sel:[0,0,1] op_sel_hi:[1,1,0] neg_lo:[0,0,1] neg_hi:[0,0,1]
	s_nop 0
	v_mov_b32_e32 v57, v19
	s_waitcnt lgkmcnt(1)
	v_pk_mul_f32 v[18:19], v[0:1], v[50:51]
	v_pk_add_f32 v[68:69], v[58:59], v[56:57] neg_lo:[0,1] neg_hi:[0,1]
	v_pk_fma_f32 v[44:45], v[88:89], v[50:51], v[18:19] op_sel:[0,0,1] op_sel_hi:[1,1,0]
	v_pk_fma_f32 v[18:19], v[88:89], v[50:51], v[18:19] op_sel:[0,0,1] op_sel_hi:[1,1,0] neg_lo:[0,0,1] neg_hi:[0,0,1]
	s_nop 0
	v_mov_b32_e32 v45, v19
	s_waitcnt lgkmcnt(0)
	v_pk_mul_f32 v[18:19], v[2:3], v[52:53]
	v_pk_add_f32 v[64:65], v[56:57], v[44:45] neg_lo:[0,1] neg_hi:[0,1]
	v_pk_fma_f32 v[50:51], v[86:87], v[52:53], v[18:19] op_sel:[0,0,1] op_sel_hi:[1,1,0]
	v_pk_fma_f32 v[18:19], v[86:87], v[52:53], v[18:19] op_sel:[0,0,1] op_sel_hi:[1,1,0] neg_lo:[0,0,1] neg_hi:[0,0,1]
	v_pk_add_f32 v[52:53], v[56:57], v[44:45]
	v_mov_b32_e32 v51, v19
	v_pk_add_f32 v[60:61], v[58:59], v[50:51] neg_lo:[0,1] neg_hi:[0,1]
	v_pk_fma_f32 v[52:53], v[52:53], 0.5, v[40:41] op_sel_hi:[1,0,1] neg_lo:[1,0,0] neg_hi:[1,0,0]
	v_pk_mul_f32 v[62:63], v[60:61], s[0:1] op_sel_hi:[1,0]
	v_pk_add_f32 v[70:71], v[50:51], v[44:45] neg_lo:[0,1] neg_hi:[0,1]
	v_pk_mul_f32 v[66:67], v[64:65], s[10:11] op_sel_hi:[1,0]
	v_pk_add_f32 v[68:69], v[68:69], v[70:71]
	v_pk_add_f32 v[70:71], v[52:53], v[62:63] op_sel:[0,1] op_sel_hi:[1,0] neg_lo:[0,1] neg_hi:[0,1]
	v_pk_add_f32 v[52:53], v[52:53], v[62:63] op_sel:[0,1] op_sel_hi:[1,0]
	v_pk_add_f32 v[18:19], v[40:41], v[58:59]
	v_pk_add_f32 v[62:63], v[52:53], v[66:67] op_sel:[0,1] op_sel_hi:[1,0]
	v_pk_add_f32 v[66:67], v[70:71], v[66:67] op_sel:[0,1] op_sel_hi:[1,0] neg_lo:[0,1] neg_hi:[0,1]
	v_pk_add_f32 v[18:19], v[18:19], v[56:57]
	v_mov_b32_e32 v52, v66
	v_mov_b32_e32 v53, v63
	v_pk_add_f32 v[18:19], v[18:19], v[44:45]
	v_pk_fma_f32 v[70:71], v[68:69], s[12:13], v[52:53] op_sel_hi:[1,0,1]
	v_pk_add_f32 v[52:53], v[58:59], v[50:51]
	v_pk_add_f32 v[18:19], v[18:19], v[50:51]
	v_pk_fma_f32 v[40:41], v[52:53], 0.5, v[40:41] op_sel_hi:[1,0,1] neg_lo:[1,0,0] neg_hi:[1,0,0]
	v_pk_add_f32 v[52:53], v[56:57], v[58:59] neg_lo:[0,1] neg_hi:[0,1]
	v_pk_add_f32 v[44:45], v[44:45], v[50:51] neg_lo:[0,1] neg_hi:[0,1]
	v_pk_mul_f32 v[50:51], v[64:65], s[0:1] op_sel_hi:[1,0]
	v_pk_add_f32 v[44:45], v[52:53], v[44:45]
	v_pk_mul_f32 v[52:53], v[60:61], s[10:11] op_sel_hi:[1,0]
	v_pk_add_f32 v[56:57], v[40:41], v[50:51] op_sel:[0,1] op_sel_hi:[1,0]
	v_pk_add_f32 v[40:41], v[40:41], v[50:51] op_sel:[0,1] op_sel_hi:[1,0] neg_lo:[0,1] neg_hi:[0,1]
	v_pk_add_f32 v[50:51], v[56:57], v[52:53] op_sel:[0,1] op_sel_hi:[1,0] neg_lo:[0,1] neg_hi:[0,1]
	v_pk_add_f32 v[40:41], v[40:41], v[52:53] op_sel:[0,1] op_sel_hi:[1,0]
	v_mov_b32_e32 v52, v50
	v_mov_b32_e32 v53, v41
	v_pk_fma_f32 v[60:61], v[44:45], s[12:13], v[52:53] op_sel_hi:[1,0,1]
	v_mov_b32_e32 v41, v51
	ds_read2_b64 v[50:53], v161 offset0:68 offset1:85
	v_mov_b32_e32 v63, v67
	v_pk_fma_f32 v[40:41], v[44:45], s[12:13], v[40:41] op_sel_hi:[1,0,1]
	v_pk_fma_f32 v[44:45], v[68:69], s[12:13], v[62:63] op_sel_hi:[1,0,1]
	ds_read2_b64 v[56:59], v161 offset0:170 offset1:187
	ds_read_b64 v[62:63], v161 offset:1904
	s_waitcnt lgkmcnt(2)
	v_pk_mul_f32 v[4:5], v[4:5], v[50:51]
	s_waitcnt lgkmcnt(0)
	v_pk_fma_f32 v[68:69], v[92:93], v[50:51], v[4:5] op_sel:[0,0,1] op_sel_hi:[1,1,0]
	v_pk_fma_f32 v[4:5], v[92:93], v[50:51], v[4:5] op_sel:[0,0,1] op_sel_hi:[1,1,0] neg_lo:[0,0,1] neg_hi:[0,0,1]
	v_pk_mul_f32 v[0:1], v[0:1], v[56:57]
	v_mov_b32_e32 v69, v5
	v_pk_mul_f32 v[4:5], v[6:7], v[46:47]
	; wave barrier
	s_nop 0
	v_pk_fma_f32 v[6:7], v[90:91], v[46:47], v[4:5] op_sel:[0,0,1] op_sel_hi:[1,1,0]
	v_pk_fma_f32 v[4:5], v[90:91], v[46:47], v[4:5] op_sel:[0,0,1] op_sel_hi:[1,1,0] neg_lo:[0,0,1] neg_hi:[0,0,1]
	ds_write2_b64 v161, v[18:19], v[70:71] offset1:17
	ds_write2_b64 v161, v[60:61], v[40:41] offset0:34 offset1:51
	v_mov_b32_e32 v7, v5
	v_pk_fma_f32 v[4:5], v[88:89], v[56:57], v[0:1] op_sel:[0,0,1] op_sel_hi:[1,1,0]
	v_pk_fma_f32 v[0:1], v[88:89], v[56:57], v[0:1] op_sel:[0,0,1] op_sel_hi:[1,1,0] neg_lo:[0,0,1] neg_hi:[0,0,1]
	v_pk_add_f32 v[18:19], v[42:43], v[68:69]
	v_mov_b32_e32 v5, v1
	v_pk_mul_f32 v[0:1], v[2:3], v[54:55]
	v_pk_mul_f32 v[12:13], v[12:13], v[52:53]
	v_pk_fma_f32 v[2:3], v[86:87], v[54:55], v[0:1] op_sel:[0,0,1] op_sel_hi:[1,1,0]
	v_pk_fma_f32 v[0:1], v[86:87], v[54:55], v[0:1] op_sel:[0,0,1] op_sel_hi:[1,1,0] neg_lo:[0,0,1] neg_hi:[0,0,1]
	v_pk_add_f32 v[18:19], v[18:19], v[6:7]
	v_pk_fma_f32 v[64:65], v[100:101], v[52:53], v[12:13] op_sel:[0,0,1] op_sel_hi:[1,1,0]
	v_pk_fma_f32 v[12:13], v[100:101], v[52:53], v[12:13] op_sel:[0,0,1] op_sel_hi:[1,1,0] neg_lo:[0,0,1] neg_hi:[0,0,1]
	v_mov_b32_e32 v3, v1
	v_pk_add_f32 v[18:19], v[18:19], v[4:5]
	v_mov_b32_e32 v65, v13
	v_pk_mul_f32 v[12:13], v[14:15], v[48:49]
	v_pk_add_f32 v[18:19], v[18:19], v[2:3]
	v_pk_fma_f32 v[14:15], v[98:99], v[48:49], v[12:13] op_sel:[0,0,1] op_sel_hi:[1,1,0]
	v_pk_fma_f32 v[12:13], v[98:99], v[48:49], v[12:13] op_sel:[0,0,1] op_sel_hi:[1,1,0] neg_lo:[0,0,1] neg_hi:[0,0,1]
	v_pk_mul_f32 v[8:9], v[8:9], v[58:59]
	v_pk_add_f32 v[0:1], v[6:7], v[4:5]
	ds_write2_b64 v161, v[44:45], v[18:19] offset0:68 offset1:85
	v_pk_add_f32 v[18:19], v[68:69], v[2:3]
	v_mov_b32_e32 v15, v13
	v_pk_fma_f32 v[12:13], v[96:97], v[58:59], v[8:9] op_sel:[0,0,1] op_sel_hi:[1,1,0]
	v_pk_fma_f32 v[8:9], v[96:97], v[58:59], v[8:9] op_sel:[0,0,1] op_sel_hi:[1,1,0] neg_lo:[0,0,1] neg_hi:[0,0,1]
	v_pk_fma_f32 v[0:1], v[0:1], 0.5, v[42:43] op_sel_hi:[1,0,1] neg_lo:[1,0,0] neg_hi:[1,0,0]
	v_pk_add_f32 v[46:47], v[68:69], v[2:3] neg_lo:[0,1] neg_hi:[0,1]
	v_pk_add_f32 v[50:51], v[6:7], v[4:5] neg_lo:[0,1] neg_hi:[0,1]
	;; [unrolled: 1-line block ×4, first 2 shown]
	v_pk_fma_f32 v[18:19], v[18:19], 0.5, v[42:43] op_sel_hi:[1,0,1] neg_lo:[1,0,0] neg_hi:[1,0,0]
	v_pk_add_f32 v[6:7], v[6:7], v[68:69] neg_lo:[0,1] neg_hi:[0,1]
	v_pk_add_f32 v[2:3], v[4:5], v[2:3] neg_lo:[0,1] neg_hi:[0,1]
	v_mov_b32_e32 v13, v9
	v_pk_mul_f32 v[8:9], v[10:11], v[62:63]
	v_pk_add_f32 v[54:55], v[54:55], v[56:57]
	v_pk_fma_f32 v[56:57], v[46:47], s[0:1], v[0:1] op_sel:[1,0,0] op_sel_hi:[0,0,1]
	v_pk_fma_f32 v[0:1], v[46:47], s[0:1], v[0:1] op_sel:[1,0,0] op_sel_hi:[0,0,1] neg_lo:[1,0,0] neg_hi:[1,0,0]
	v_pk_add_f32 v[2:3], v[6:7], v[2:3]
	v_pk_fma_f32 v[4:5], v[50:51], s[0:1], v[18:19] op_sel:[1,0,0] op_sel_hi:[0,0,1] neg_lo:[1,0,0] neg_hi:[1,0,0]
	v_pk_fma_f32 v[6:7], v[50:51], s[0:1], v[18:19] op_sel:[1,0,0] op_sel_hi:[0,0,1]
	v_pk_fma_f32 v[10:11], v[94:95], v[62:63], v[8:9] op_sel:[0,0,1] op_sel_hi:[1,1,0]
	v_pk_fma_f32 v[8:9], v[94:95], v[62:63], v[8:9] op_sel:[0,0,1] op_sel_hi:[1,1,0] neg_lo:[0,0,1] neg_hi:[0,0,1]
	v_pk_fma_f32 v[0:1], v[50:51], s[10:11], v[0:1] op_sel:[1,0,0] op_sel_hi:[0,0,1] neg_lo:[1,0,0] neg_hi:[1,0,0]
	v_pk_fma_f32 v[56:57], v[50:51], s[10:11], v[56:57] op_sel:[1,0,0] op_sel_hi:[0,0,1]
	v_pk_fma_f32 v[6:7], v[46:47], s[10:11], v[6:7] op_sel:[1,0,0] op_sel_hi:[0,0,1] neg_lo:[1,0,0] neg_hi:[1,0,0]
	v_pk_fma_f32 v[4:5], v[46:47], s[10:11], v[4:5] op_sel:[1,0,0] op_sel_hi:[0,0,1]
	v_mov_b32_e32 v11, v9
	v_pk_add_f32 v[8:9], v[14:15], v[12:13]
	v_mov_b32_e32 v73, v1
	v_mov_b32_e32 v1, v57
	;; [unrolled: 1-line block ×5, first 2 shown]
	v_pk_fma_f32 v[8:9], v[8:9], 0.5, v[16:17] op_sel_hi:[1,0,1] neg_lo:[1,0,0] neg_hi:[1,0,0]
	v_pk_add_f32 v[48:49], v[64:65], v[10:11] neg_lo:[0,1] neg_hi:[0,1]
	v_pk_add_f32 v[58:59], v[64:65], v[14:15] neg_lo:[0,1] neg_hi:[0,1]
	;; [unrolled: 1-line block ×3, first 2 shown]
	v_mov_b32_e32 v72, v56
	v_pk_fma_f32 v[0:1], v[54:55], s[12:13], v[0:1] op_sel_hi:[1,0,1]
	v_pk_fma_f32 v[18:19], v[2:3], s[12:13], v[18:19] op_sel_hi:[1,0,1]
	;; [unrolled: 1-line block ×3, first 2 shown]
	v_pk_add_f32 v[52:53], v[14:15], v[12:13] neg_lo:[0,1] neg_hi:[0,1]
	v_pk_add_f32 v[58:59], v[58:59], v[62:63]
	v_pk_fma_f32 v[62:63], v[48:49], s[0:1], v[8:9] op_sel:[1,0,0] op_sel_hi:[0,0,1]
	v_pk_fma_f32 v[8:9], v[48:49], s[0:1], v[8:9] op_sel:[1,0,0] op_sel_hi:[0,0,1] neg_lo:[1,0,0] neg_hi:[1,0,0]
	v_pk_fma_f32 v[72:73], v[54:55], s[12:13], v[72:73] op_sel_hi:[1,0,1]
	ds_write2_b64 v161, v[0:1], v[2:3] offset0:102 offset1:119
	ds_write2_b64 v161, v[18:19], v[72:73] offset0:136 offset1:153
	v_pk_add_f32 v[0:1], v[16:17], v[64:65]
	v_pk_fma_f32 v[8:9], v[52:53], s[10:11], v[8:9] op_sel:[1,0,0] op_sel_hi:[0,0,1] neg_lo:[1,0,0] neg_hi:[1,0,0]
	v_pk_fma_f32 v[62:63], v[52:53], s[10:11], v[62:63] op_sel:[1,0,0] op_sel_hi:[0,0,1]
	v_pk_add_f32 v[0:1], v[0:1], v[14:15]
	v_mov_b32_e32 v67, v9
	v_pk_add_f32 v[0:1], v[0:1], v[12:13]
	v_mov_b32_e32 v9, v63
	v_pk_add_f32 v[0:1], v[0:1], v[10:11]
	v_pk_fma_f32 v[2:3], v[58:59], s[12:13], v[8:9] op_sel_hi:[1,0,1]
	ds_write2_b64 v148, v[0:1], v[2:3] offset0:170 offset1:187
	v_pk_add_f32 v[0:1], v[64:65], v[10:11]
	v_pk_add_f32 v[2:3], v[14:15], v[64:65] neg_lo:[0,1] neg_hi:[0,1]
	v_pk_fma_f32 v[0:1], v[0:1], 0.5, v[16:17] op_sel_hi:[1,0,1] neg_lo:[1,0,0] neg_hi:[1,0,0]
	v_pk_add_f32 v[4:5], v[12:13], v[10:11] neg_lo:[0,1] neg_hi:[0,1]
	v_mov_b32_e32 v66, v62
	v_pk_add_f32 v[2:3], v[2:3], v[4:5]
	v_pk_fma_f32 v[4:5], v[52:53], s[0:1], v[0:1] op_sel:[1,0,0] op_sel_hi:[0,0,1] neg_lo:[1,0,0] neg_hi:[1,0,0]
	v_pk_fma_f32 v[0:1], v[52:53], s[0:1], v[0:1] op_sel:[1,0,0] op_sel_hi:[0,0,1]
	v_pk_fma_f32 v[0:1], v[48:49], s[10:11], v[0:1] op_sel:[1,0,0] op_sel_hi:[0,0,1] neg_lo:[1,0,0] neg_hi:[1,0,0]
	v_pk_fma_f32 v[4:5], v[48:49], s[10:11], v[4:5] op_sel:[1,0,0] op_sel_hi:[0,0,1]
	v_mov_b32_e32 v6, v4
	v_mov_b32_e32 v7, v1
	;; [unrolled: 1-line block ×3, first 2 shown]
	v_pk_fma_f32 v[6:7], v[2:3], s[12:13], v[6:7] op_sel_hi:[1,0,1]
	v_pk_fma_f32 v[0:1], v[2:3], s[12:13], v[0:1] op_sel_hi:[1,0,1]
	;; [unrolled: 1-line block ×3, first 2 shown]
	ds_write2_b64 v148, v[0:1], v[6:7] offset0:204 offset1:221
	ds_write_b64 v148, v[66:67] offset:1904
	s_waitcnt lgkmcnt(0)
	; wave barrier
	s_waitcnt lgkmcnt(0)
	ds_read2_b64 v[0:3], v161 offset0:68 offset1:85
	ds_read2_b64 v[4:7], v161 offset1:17
	ds_read2_b64 v[8:11], v161 offset0:170 offset1:187
	s_mov_b32 s0, 0x3f5db3d7
	s_waitcnt lgkmcnt(2)
	v_pk_mul_f32 v[12:13], v[36:37], v[2:3]
	s_nop 0
	v_pk_fma_f32 v[36:37], v[84:85], v[2:3], v[12:13] op_sel:[0,0,1] op_sel_hi:[1,1,0]
	v_pk_fma_f32 v[2:3], v[84:85], v[2:3], v[12:13] op_sel:[0,0,1] op_sel_hi:[1,1,0] neg_lo:[0,0,1] neg_hi:[0,0,1]
	ds_read2_b64 v[12:15], v161 offset0:102 offset1:119
	v_mov_b32_e32 v37, v3
	s_waitcnt lgkmcnt(1)
	v_pk_mul_f32 v[2:3], v[38:39], v[8:9]
	s_nop 0
	v_pk_fma_f32 v[38:39], v[82:83], v[8:9], v[2:3] op_sel:[0,0,1] op_sel_hi:[1,1,0]
	v_pk_fma_f32 v[2:3], v[82:83], v[8:9], v[2:3] op_sel:[0,0,1] op_sel_hi:[1,1,0] neg_lo:[0,0,1] neg_hi:[0,0,1]
	s_waitcnt lgkmcnt(0)
	v_pk_mul_f32 v[8:9], v[24:25], v[12:13] op_sel:[1,0]
	v_mov_b32_e32 v39, v3
	v_pk_fma_f32 v[40:41], v[24:25], v[12:13], v[8:9] op_sel:[0,0,1] op_sel_hi:[1,1,0]
	v_pk_fma_f32 v[8:9], v[24:25], v[12:13], v[8:9] op_sel:[0,0,1] op_sel_hi:[0,1,0] neg_lo:[0,0,1] neg_hi:[0,0,1]
	v_mov_b32_e32 v41, v9
	v_pk_mul_f32 v[8:9], v[26:27], v[10:11] op_sel:[1,0]
	v_pk_mul_f32 v[12:13], v[28:29], v[14:15]
	v_pk_fma_f32 v[24:25], v[26:27], v[10:11], v[8:9] op_sel:[0,0,1] op_sel_hi:[1,1,0]
	v_pk_fma_f32 v[8:9], v[26:27], v[10:11], v[8:9] op_sel:[0,0,1] op_sel_hi:[0,1,0] neg_lo:[0,0,1] neg_hi:[0,0,1]
	v_mov_b32_e32 v25, v9
	v_pk_add_f32 v[8:9], v[6:7], v[40:41]
	v_pk_fma_f32 v[28:29], v[80:81], v[14:15], v[12:13] op_sel:[0,0,1] op_sel_hi:[1,1,0]
	v_pk_add_f32 v[26:27], v[8:9], v[24:25]
	ds_read2_b64 v[8:11], v161 offset0:34 offset1:51
	ds_read2_b64 v[16:19], v161 offset0:204 offset1:221
	v_pk_fma_f32 v[12:13], v[80:81], v[14:15], v[12:13] op_sel:[0,0,1] op_sel_hi:[1,1,0] neg_lo:[0,0,1] neg_hi:[0,0,1]
	v_pk_add_f32 v[2:3], v[4:5], v[36:37]
	v_mov_b32_e32 v29, v13
	ds_read2_b64 v[12:15], v161 offset0:136 offset1:153
	s_waitcnt lgkmcnt(1)
	v_pk_mul_f32 v[30:31], v[30:31], v[16:17]
	v_pk_add_f32 v[2:3], v[2:3], v[38:39]
	v_pk_fma_f32 v[42:43], v[78:79], v[16:17], v[30:31] op_sel:[0,0,1] op_sel_hi:[1,1,0]
	v_pk_fma_f32 v[16:17], v[78:79], v[16:17], v[30:31] op_sel:[0,0,1] op_sel_hi:[1,1,0] neg_lo:[0,0,1] neg_hi:[0,0,1]
	s_waitcnt lgkmcnt(0)
	v_pk_mul_f32 v[30:31], v[20:21], v[12:13] op_sel:[1,0]
	v_mov_b32_e32 v43, v17
	v_pk_fma_f32 v[44:45], v[20:21], v[12:13], v[30:31] op_sel:[0,0,1] op_sel_hi:[1,1,0]
	v_pk_fma_f32 v[12:13], v[20:21], v[12:13], v[30:31] op_sel:[0,0,1] op_sel_hi:[0,1,0] neg_lo:[0,0,1] neg_hi:[0,0,1]
	v_mov_b32_e32 v45, v13
	v_pk_mul_f32 v[12:13], v[22:23], v[18:19] op_sel:[1,0]
	v_pk_add_f32 v[16:17], v[8:9], v[28:29]
	v_pk_fma_f32 v[20:21], v[22:23], v[18:19], v[12:13] op_sel:[0,0,1] op_sel_hi:[1,1,0]
	v_pk_fma_f32 v[12:13], v[22:23], v[18:19], v[12:13] op_sel:[0,0,1] op_sel_hi:[0,1,0] neg_lo:[0,0,1] neg_hi:[0,0,1]
	ds_read_b64 v[18:19], v161 offset:1904
	v_pk_mul_f32 v[22:23], v[32:33], v[14:15]
	ds_write2_b64 v103, v[2:3], v[26:27] offset1:17
	v_pk_fma_f32 v[30:31], v[76:77], v[14:15], v[22:23] op_sel:[0,0,1] op_sel_hi:[1,1,0]
	v_pk_fma_f32 v[14:15], v[76:77], v[14:15], v[22:23] op_sel:[0,0,1] op_sel_hi:[1,1,0] neg_lo:[0,0,1] neg_hi:[0,0,1]
	v_pk_add_f32 v[2:3], v[40:41], v[24:25]
	v_mov_b32_e32 v31, v15
	s_waitcnt lgkmcnt(1)
	v_pk_mul_f32 v[14:15], v[34:35], v[18:19]
	v_pk_fma_f32 v[2:3], v[2:3], 0.5, v[6:7] op_sel_hi:[1,0,1] neg_lo:[1,0,0] neg_hi:[1,0,0]
	v_pk_fma_f32 v[22:23], v[134:135], v[18:19], v[14:15] op_sel:[0,0,1] op_sel_hi:[1,1,0]
	v_pk_fma_f32 v[14:15], v[134:135], v[18:19], v[14:15] op_sel:[0,0,1] op_sel_hi:[1,1,0] neg_lo:[0,0,1] neg_hi:[0,0,1]
	v_pk_add_f32 v[18:19], v[36:37], v[38:39]
	v_pk_add_f32 v[6:7], v[40:41], v[24:25] neg_lo:[0,1] neg_hi:[0,1]
	v_pk_fma_f32 v[4:5], v[18:19], 0.5, v[4:5] op_sel_hi:[1,0,1] neg_lo:[1,0,0] neg_hi:[1,0,0]
	v_pk_add_f32 v[18:19], v[36:37], v[38:39] neg_lo:[0,1] neg_hi:[0,1]
	v_pk_mul_f32 v[6:7], v[6:7], s[0:1] op_sel_hi:[1,0]
	v_pk_mul_f32 v[18:19], v[18:19], s[0:1] op_sel_hi:[1,0]
	v_pk_add_f32 v[24:25], v[2:3], v[6:7] op_sel:[0,1] op_sel_hi:[1,0] neg_lo:[0,1] neg_hi:[0,1]
	v_pk_add_f32 v[32:33], v[4:5], v[18:19] op_sel:[0,1] op_sel_hi:[1,0] neg_lo:[0,1] neg_hi:[0,1]
	v_pk_add_f32 v[4:5], v[4:5], v[18:19] op_sel:[0,1] op_sel_hi:[1,0]
	v_pk_add_f32 v[2:3], v[2:3], v[6:7] op_sel:[0,1] op_sel_hi:[1,0]
	v_mov_b32_e32 v18, v32
	v_mov_b32_e32 v19, v5
	;; [unrolled: 1-line block ×6, first 2 shown]
	v_pk_add_f32 v[16:17], v[16:17], v[42:43]
	ds_write2_b64 v103, v[18:19], v[6:7] offset0:85 offset1:102
	ds_write2_b64 v103, v[4:5], v[2:3] offset0:170 offset1:187
	ds_write_b64 v103, v[16:17] offset:272
	v_pk_add_f32 v[2:3], v[28:29], v[42:43]
	v_pk_add_f32 v[4:5], v[28:29], v[42:43] neg_lo:[0,1] neg_hi:[0,1]
	v_pk_fma_f32 v[2:3], v[2:3], 0.5, v[8:9] op_sel_hi:[1,0,1] neg_lo:[1,0,0] neg_hi:[1,0,0]
	v_pk_mul_f32 v[4:5], v[4:5], s[0:1] op_sel_hi:[1,0]
	v_mov_b32_e32 v21, v13
	v_pk_add_f32 v[6:7], v[2:3], v[4:5] op_sel:[0,1] op_sel_hi:[1,0] neg_lo:[0,1] neg_hi:[0,1]
	v_pk_add_f32 v[2:3], v[2:3], v[4:5] op_sel:[0,1] op_sel_hi:[1,0]
	v_pk_add_f32 v[12:13], v[10:11], v[44:45]
	v_mov_b32_e32 v4, v6
	v_mov_b32_e32 v5, v3
	;; [unrolled: 1-line block ×3, first 2 shown]
	v_pk_add_f32 v[12:13], v[12:13], v[20:21]
	ds_write2_b64 v102, v[4:5], v[2:3] offset0:85 offset1:170
	ds_write_b64 v103, v[12:13] offset:408
	v_pk_add_f32 v[2:3], v[44:45], v[20:21]
	v_pk_add_f32 v[4:5], v[44:45], v[20:21] neg_lo:[0,1] neg_hi:[0,1]
	v_pk_fma_f32 v[2:3], v[2:3], 0.5, v[10:11] op_sel_hi:[1,0,1] neg_lo:[1,0,0] neg_hi:[1,0,0]
	v_pk_mul_f32 v[4:5], v[4:5], s[0:1] op_sel_hi:[1,0]
	v_mov_b32_e32 v23, v15
	v_pk_add_f32 v[6:7], v[2:3], v[4:5] op_sel:[0,1] op_sel_hi:[1,0] neg_lo:[0,1] neg_hi:[0,1]
	v_pk_add_f32 v[2:3], v[2:3], v[4:5] op_sel:[0,1] op_sel_hi:[1,0]
	v_pk_add_f32 v[14:15], v[0:1], v[30:31]
	v_mov_b32_e32 v4, v6
	v_mov_b32_e32 v5, v3
	;; [unrolled: 1-line block ×3, first 2 shown]
	v_pk_add_f32 v[14:15], v[14:15], v[22:23]
	ds_write2_b64 v75, v[4:5], v[2:3] offset0:85 offset1:170
	ds_write_b64 v103, v[14:15] offset:544
	v_pk_add_f32 v[2:3], v[30:31], v[22:23]
	s_nop 0
	v_pk_fma_f32 v[0:1], v[2:3], 0.5, v[0:1] op_sel_hi:[1,0,1] neg_lo:[1,0,0] neg_hi:[1,0,0]
	v_pk_add_f32 v[2:3], v[30:31], v[22:23] neg_lo:[0,1] neg_hi:[0,1]
	s_nop 0
	v_pk_mul_f32 v[2:3], v[2:3], s[0:1] op_sel_hi:[1,0]
	s_nop 0
	v_pk_add_f32 v[4:5], v[0:1], v[2:3] op_sel:[0,1] op_sel_hi:[1,0] neg_lo:[0,1] neg_hi:[0,1]
	v_pk_add_f32 v[0:1], v[0:1], v[2:3] op_sel:[0,1] op_sel_hi:[1,0]
	v_mov_b32_e32 v2, v4
	v_mov_b32_e32 v3, v1
	;; [unrolled: 1-line block ×3, first 2 shown]
	ds_write2_b64 v74, v[2:3], v[0:1] offset0:85 offset1:170
	s_waitcnt lgkmcnt(0)
	; wave barrier
	s_waitcnt lgkmcnt(0)
	s_and_b64 exec, exec, vcc
	s_cbranch_execz .LBB0_15
; %bb.14:
	global_load_dwordx2 v[2:3], v160, s[2:3]
	ds_read_b64 v[6:7], v103
	v_mad_u64_u32 v[4:5], s[0:1], s6, v218, 0
	v_mov_b32_e32 v10, v5
	v_mad_u64_u32 v[10:11], s[6:7], s7, v218, v[10:11]
	v_mov_b32_e32 v0, s8
	v_mov_b32_e32 v1, s9
	;; [unrolled: 1-line block ×3, first 2 shown]
	v_mad_u64_u32 v[8:9], s[8:9], s4, v214, 0
	v_lshl_add_u64 v[0:1], v[4:5], 3, v[0:1]
	s_mov_b32 s0, 0x10101010
	v_mov_b32_e32 v12, v9
	s_mov_b32 s1, 0x3f701010
	v_mad_u64_u32 v[12:13], s[6:7], s5, v214, v[12:13]
	v_mov_b32_e32 v9, v12
	v_lshl_add_u64 v[8:9], v[8:9], 3, v[0:1]
	v_lshl_add_u32 v10, v216, 3, v160
	v_mov_b32_e32 v11, 0x78
	s_mul_i32 s6, s5, 0x78
	s_waitcnt vmcnt(0) lgkmcnt(0)
	v_mul_f32_e32 v4, v7, v3
	v_mul_f32_e32 v3, v6, v3
	v_fmac_f32_e32 v4, v6, v2
	v_fma_f32 v5, v2, v7, -v3
	v_cvt_f64_f32_e32 v[2:3], v4
	v_cvt_f64_f32_e32 v[4:5], v5
	v_mul_f64 v[2:3], v[2:3], s[0:1]
	v_mul_f64 v[4:5], v[4:5], s[0:1]
	v_cvt_f32_f64_e32 v2, v[2:3]
	v_cvt_f32_f64_e32 v3, v[4:5]
	global_store_dwordx2 v[8:9], v[2:3], off
	global_load_dwordx2 v[6:7], v160, s[2:3] offset:120
	ds_read2_b64 v[2:5], v10 offset0:15 offset1:30
	v_mad_u64_u32 v[8:9], s[8:9], s4, v11, v[8:9]
	v_add_u32_e32 v9, s6, v9
	s_waitcnt vmcnt(0) lgkmcnt(0)
	v_mul_f32_e32 v12, v3, v7
	v_mul_f32_e32 v7, v2, v7
	v_fmac_f32_e32 v12, v2, v6
	v_fma_f32 v6, v6, v3, -v7
	v_cvt_f64_f32_e32 v[2:3], v12
	v_cvt_f64_f32_e32 v[6:7], v6
	v_mul_f64 v[2:3], v[2:3], s[0:1]
	v_mul_f64 v[6:7], v[6:7], s[0:1]
	v_cvt_f32_f64_e32 v2, v[2:3]
	v_cvt_f32_f64_e32 v3, v[6:7]
	global_store_dwordx2 v[8:9], v[2:3], off
	global_load_dwordx2 v[2:3], v160, s[2:3] offset:240
	v_mad_u64_u32 v[6:7], s[8:9], s4, v11, v[8:9]
	v_add_u32_e32 v7, s6, v7
	s_waitcnt vmcnt(0)
	v_mul_f32_e32 v8, v5, v3
	v_mul_f32_e32 v3, v4, v3
	v_fmac_f32_e32 v8, v4, v2
	v_fma_f32 v4, v2, v5, -v3
	v_cvt_f64_f32_e32 v[2:3], v8
	v_cvt_f64_f32_e32 v[4:5], v4
	v_mul_f64 v[2:3], v[2:3], s[0:1]
	v_mul_f64 v[4:5], v[4:5], s[0:1]
	v_cvt_f32_f64_e32 v2, v[2:3]
	v_cvt_f32_f64_e32 v3, v[4:5]
	global_store_dwordx2 v[6:7], v[2:3], off
	global_load_dwordx2 v[8:9], v160, s[2:3] offset:360
	ds_read2_b64 v[2:5], v10 offset0:45 offset1:60
	v_mad_u64_u32 v[6:7], s[8:9], s4, v11, v[6:7]
	v_add_u32_e32 v7, s6, v7
	s_waitcnt vmcnt(0) lgkmcnt(0)
	v_mul_f32_e32 v12, v3, v9
	v_mul_f32_e32 v9, v2, v9
	v_fmac_f32_e32 v12, v2, v8
	v_fma_f32 v8, v8, v3, -v9
	v_cvt_f64_f32_e32 v[2:3], v12
	v_cvt_f64_f32_e32 v[8:9], v8
	v_mul_f64 v[2:3], v[2:3], s[0:1]
	v_mul_f64 v[8:9], v[8:9], s[0:1]
	v_cvt_f32_f64_e32 v2, v[2:3]
	v_cvt_f32_f64_e32 v3, v[8:9]
	global_store_dwordx2 v[6:7], v[2:3], off
	global_load_dwordx2 v[2:3], v160, s[2:3] offset:480
	v_mad_u64_u32 v[6:7], s[8:9], s4, v11, v[6:7]
	v_add_u32_e32 v7, s6, v7
	s_waitcnt vmcnt(0)
	;; [unrolled: 31-line block ×7, first 2 shown]
	v_mul_f32_e32 v8, v5, v3
	v_mul_f32_e32 v3, v4, v3
	v_fmac_f32_e32 v8, v4, v2
	v_fma_f32 v4, v2, v5, -v3
	v_cvt_f64_f32_e32 v[2:3], v8
	v_cvt_f64_f32_e32 v[4:5], v4
	v_mul_f64 v[2:3], v[2:3], s[0:1]
	v_mul_f64 v[4:5], v[4:5], s[0:1]
	v_cvt_f32_f64_e32 v2, v[2:3]
	v_cvt_f32_f64_e32 v3, v[4:5]
	global_store_dwordx2 v[6:7], v[2:3], off
	global_load_dwordx2 v[8:9], v160, s[2:3] offset:1800
	ds_read2_b64 v[2:5], v10 offset0:225 offset1:240
	v_mad_u64_u32 v[6:7], s[8:9], s4, v11, v[6:7]
	v_add_u32_e32 v7, s6, v7
	s_waitcnt vmcnt(0) lgkmcnt(0)
	v_mul_f32_e32 v10, v3, v9
	v_mul_f32_e32 v9, v2, v9
	v_fmac_f32_e32 v10, v2, v8
	v_fma_f32 v8, v8, v3, -v9
	v_cvt_f64_f32_e32 v[2:3], v10
	v_cvt_f64_f32_e32 v[8:9], v8
	v_mul_f64 v[2:3], v[2:3], s[0:1]
	v_mul_f64 v[8:9], v[8:9], s[0:1]
	v_cvt_f32_f64_e32 v2, v[2:3]
	v_cvt_f32_f64_e32 v3, v[8:9]
	global_store_dwordx2 v[6:7], v[2:3], off
	global_load_dwordx2 v[2:3], v160, s[2:3] offset:1920
	v_or_b32_e32 v9, 0xf0, v214
	v_mad_u64_u32 v[6:7], s[2:3], s4, v9, 0
	v_mov_b32_e32 v8, v7
	v_mad_u64_u32 v[8:9], s[2:3], s5, v9, v[8:9]
	v_mov_b32_e32 v7, v8
	v_lshl_add_u64 v[0:1], v[6:7], 3, v[0:1]
	s_waitcnt vmcnt(0)
	v_mul_f32_e32 v8, v5, v3
	v_mul_f32_e32 v3, v4, v3
	v_fmac_f32_e32 v8, v4, v2
	v_fma_f32 v4, v2, v5, -v3
	v_cvt_f64_f32_e32 v[2:3], v8
	v_cvt_f64_f32_e32 v[4:5], v4
	v_mul_f64 v[2:3], v[2:3], s[0:1]
	v_mul_f64 v[4:5], v[4:5], s[0:1]
	v_cvt_f32_f64_e32 v2, v[2:3]
	v_cvt_f32_f64_e32 v3, v[4:5]
	global_store_dwordx2 v[0:1], v[2:3], off
.LBB0_15:
	s_endpgm
	.section	.rodata,"a",@progbits
	.p2align	6, 0x0
	.amdhsa_kernel bluestein_single_back_len255_dim1_sp_op_CI_CI
		.amdhsa_group_segment_fixed_size 6120
		.amdhsa_private_segment_fixed_size 0
		.amdhsa_kernarg_size 104
		.amdhsa_user_sgpr_count 2
		.amdhsa_user_sgpr_dispatch_ptr 0
		.amdhsa_user_sgpr_queue_ptr 0
		.amdhsa_user_sgpr_kernarg_segment_ptr 1
		.amdhsa_user_sgpr_dispatch_id 0
		.amdhsa_user_sgpr_kernarg_preload_length 0
		.amdhsa_user_sgpr_kernarg_preload_offset 0
		.amdhsa_user_sgpr_private_segment_size 0
		.amdhsa_uses_dynamic_stack 0
		.amdhsa_enable_private_segment 0
		.amdhsa_system_sgpr_workgroup_id_x 1
		.amdhsa_system_sgpr_workgroup_id_y 0
		.amdhsa_system_sgpr_workgroup_id_z 0
		.amdhsa_system_sgpr_workgroup_info 0
		.amdhsa_system_vgpr_workitem_id 0
		.amdhsa_next_free_vgpr 276
		.amdhsa_next_free_sgpr 58
		.amdhsa_accum_offset 256
		.amdhsa_reserve_vcc 1
		.amdhsa_float_round_mode_32 0
		.amdhsa_float_round_mode_16_64 0
		.amdhsa_float_denorm_mode_32 3
		.amdhsa_float_denorm_mode_16_64 3
		.amdhsa_dx10_clamp 1
		.amdhsa_ieee_mode 1
		.amdhsa_fp16_overflow 0
		.amdhsa_tg_split 0
		.amdhsa_exception_fp_ieee_invalid_op 0
		.amdhsa_exception_fp_denorm_src 0
		.amdhsa_exception_fp_ieee_div_zero 0
		.amdhsa_exception_fp_ieee_overflow 0
		.amdhsa_exception_fp_ieee_underflow 0
		.amdhsa_exception_fp_ieee_inexact 0
		.amdhsa_exception_int_div_zero 0
	.end_amdhsa_kernel
	.text
.Lfunc_end0:
	.size	bluestein_single_back_len255_dim1_sp_op_CI_CI, .Lfunc_end0-bluestein_single_back_len255_dim1_sp_op_CI_CI
                                        ; -- End function
	.section	.AMDGPU.csdata,"",@progbits
; Kernel info:
; codeLenInByte = 17052
; NumSgprs: 64
; NumVgprs: 256
; NumAgprs: 20
; TotalNumVgprs: 276
; ScratchSize: 0
; MemoryBound: 0
; FloatMode: 240
; IeeeMode: 1
; LDSByteSize: 6120 bytes/workgroup (compile time only)
; SGPRBlocks: 7
; VGPRBlocks: 34
; NumSGPRsForWavesPerEU: 64
; NumVGPRsForWavesPerEU: 276
; AccumOffset: 256
; Occupancy: 1
; WaveLimiterHint : 1
; COMPUTE_PGM_RSRC2:SCRATCH_EN: 0
; COMPUTE_PGM_RSRC2:USER_SGPR: 2
; COMPUTE_PGM_RSRC2:TRAP_HANDLER: 0
; COMPUTE_PGM_RSRC2:TGID_X_EN: 1
; COMPUTE_PGM_RSRC2:TGID_Y_EN: 0
; COMPUTE_PGM_RSRC2:TGID_Z_EN: 0
; COMPUTE_PGM_RSRC2:TIDIG_COMP_CNT: 0
; COMPUTE_PGM_RSRC3_GFX90A:ACCUM_OFFSET: 63
; COMPUTE_PGM_RSRC3_GFX90A:TG_SPLIT: 0
	.text
	.p2alignl 6, 3212836864
	.fill 256, 4, 3212836864
	.type	__hip_cuid_bad67a34a92fcbc8,@object ; @__hip_cuid_bad67a34a92fcbc8
	.section	.bss,"aw",@nobits
	.globl	__hip_cuid_bad67a34a92fcbc8
__hip_cuid_bad67a34a92fcbc8:
	.byte	0                               ; 0x0
	.size	__hip_cuid_bad67a34a92fcbc8, 1

	.ident	"AMD clang version 19.0.0git (https://github.com/RadeonOpenCompute/llvm-project roc-6.4.0 25133 c7fe45cf4b819c5991fe208aaa96edf142730f1d)"
	.section	".note.GNU-stack","",@progbits
	.addrsig
	.addrsig_sym __hip_cuid_bad67a34a92fcbc8
	.amdgpu_metadata
---
amdhsa.kernels:
  - .agpr_count:     20
    .args:
      - .actual_access:  read_only
        .address_space:  global
        .offset:         0
        .size:           8
        .value_kind:     global_buffer
      - .actual_access:  read_only
        .address_space:  global
        .offset:         8
        .size:           8
        .value_kind:     global_buffer
      - .actual_access:  read_only
        .address_space:  global
        .offset:         16
        .size:           8
        .value_kind:     global_buffer
      - .actual_access:  read_only
        .address_space:  global
        .offset:         24
        .size:           8
        .value_kind:     global_buffer
      - .actual_access:  read_only
        .address_space:  global
        .offset:         32
        .size:           8
        .value_kind:     global_buffer
      - .offset:         40
        .size:           8
        .value_kind:     by_value
      - .address_space:  global
        .offset:         48
        .size:           8
        .value_kind:     global_buffer
      - .address_space:  global
        .offset:         56
        .size:           8
        .value_kind:     global_buffer
      - .address_space:  global
        .offset:         64
        .size:           8
        .value_kind:     global_buffer
      - .address_space:  global
        .offset:         72
        .size:           8
        .value_kind:     global_buffer
      - .offset:         80
        .size:           4
        .value_kind:     by_value
      - .address_space:  global
        .offset:         88
        .size:           8
        .value_kind:     global_buffer
      - .address_space:  global
        .offset:         96
        .size:           8
        .value_kind:     global_buffer
    .group_segment_fixed_size: 6120
    .kernarg_segment_align: 8
    .kernarg_segment_size: 104
    .language:       OpenCL C
    .language_version:
      - 2
      - 0
    .max_flat_workgroup_size: 51
    .name:           bluestein_single_back_len255_dim1_sp_op_CI_CI
    .private_segment_fixed_size: 0
    .sgpr_count:     64
    .sgpr_spill_count: 0
    .symbol:         bluestein_single_back_len255_dim1_sp_op_CI_CI.kd
    .uniform_work_group_size: 1
    .uses_dynamic_stack: false
    .vgpr_count:     276
    .vgpr_spill_count: 0
    .wavefront_size: 64
amdhsa.target:   amdgcn-amd-amdhsa--gfx950
amdhsa.version:
  - 1
  - 2
...

	.end_amdgpu_metadata
